;; amdgpu-corpus repo=ROCm/rocFFT kind=compiled arch=gfx1030 opt=O3
	.text
	.amdgcn_target "amdgcn-amd-amdhsa--gfx1030"
	.amdhsa_code_object_version 6
	.protected	bluestein_single_fwd_len1734_dim1_dp_op_CI_CI ; -- Begin function bluestein_single_fwd_len1734_dim1_dp_op_CI_CI
	.globl	bluestein_single_fwd_len1734_dim1_dp_op_CI_CI
	.p2align	8
	.type	bluestein_single_fwd_len1734_dim1_dp_op_CI_CI,@function
bluestein_single_fwd_len1734_dim1_dp_op_CI_CI: ; @bluestein_single_fwd_len1734_dim1_dp_op_CI_CI
; %bb.0:
	s_load_dwordx4 s[12:15], s[4:5], 0x28
	v_mul_u32_u24_e32 v1, 0x283, v0
	s_mov_b64 s[62:63], s[2:3]
	s_mov_b64 s[60:61], s[0:1]
	v_mov_b32_e32 v3, 0
	s_add_u32 s60, s60, s7
	v_lshrrev_b32_e32 v1, 16, v1
	s_addc_u32 s61, s61, 0
	s_mov_b32 s0, exec_lo
	v_add_nc_u32_e32 v2, s6, v1
	s_waitcnt lgkmcnt(0)
	v_cmpx_gt_u64_e64 s[12:13], v[2:3]
	s_cbranch_execz .LBB0_10
; %bb.1:
	s_clause 0x2
	s_load_dwordx4 s[0:3], s[4:5], 0x0
	s_load_dwordx4 s[8:11], s[4:5], 0x18
	s_load_dwordx2 s[12:13], s[4:5], 0x38
	v_mov_b32_e32 v3, v2
	v_mul_lo_u16 v1, 0x66, v1
	s_mov_b32 s42, 0x5d8e7cdc
	s_mov_b32 s48, 0x2a9d6da3
	;; [unrolled: 1-line block ×4, first 2 shown]
	v_sub_nc_u16 v232, v0, v1
	s_mov_b32 s22, 0x6c9a05f6
	s_mov_b32 s28, 0x4363dd80
	;; [unrolled: 1-line block ×4, first 2 shown]
	v_and_b32_e32 v6, 0xffff, v232
	s_mov_b32 s49, 0xbfe58eea
	s_mov_b32 s53, 0xbfeca52d
	;; [unrolled: 1-line block ×4, first 2 shown]
	v_lshlrev_b32_e32 v248, 4, v6
	s_mov_b32 s29, 0xbfe0d888
	s_waitcnt lgkmcnt(0)
	s_load_dwordx4 s[4:7], s[10:11], 0x0
	s_load_dwordx4 s[8:11], s[8:9], 0x0
	buffer_store_dword v3, off, s[60:63], 0 offset:20 ; 4-byte Folded Spill
	buffer_store_dword v4, off, s[60:63], 0 offset:24 ; 4-byte Folded Spill
	buffer_store_dword v6, off, s[60:63], 0 ; 4-byte Folded Spill
	global_load_dwordx4 v[10:13], v248, s[0:1]
	s_mov_b32 s41, 0xbfc7851a
	s_mov_b32 s34, 0x370991
	;; [unrolled: 1-line block ×16, first 2 shown]
	s_waitcnt lgkmcnt(0)
	v_mad_u64_u32 v[0:1], null, s10, v2, 0
	v_add_co_u32 v240, s10, s0, v248
	v_add_co_ci_u32_e64 v241, null, s1, 0, s10
	s_mul_hi_u32 s10, s8, 0x660
	s_mov_b32 s37, 0x3fd71e95
	v_mad_u64_u32 v[1:2], null, s11, v2, v[1:2]
	v_mad_u64_u32 v[2:3], null, s8, v6, 0
	s_mulk_i32 s8, 0x660
	s_mov_b32 s36, s42
	s_mov_b32 s57, 0x3fc7851a
	;; [unrolled: 1-line block ×3, first 2 shown]
	v_lshlrev_b64 v[0:1], 4, v[0:1]
	s_mov_b32 s31, 0x3fe58eea
	s_mov_b32 s30, s48
	;; [unrolled: 1-line block ×6, first 2 shown]
	v_mad_u64_u32 v[3:4], null, s9, v6, v[3:4]
	v_add_co_u32 v4, vcc_lo, s14, v0
	v_add_co_ci_u32_e32 v5, vcc_lo, s15, v1, vcc_lo
	s_mulk_i32 s9, 0x660
	s_mov_b32 s14, 0x2b2883cd
	v_lshlrev_b64 v[0:1], 4, v[2:3]
	s_add_i32 s9, s10, s9
	s_mov_b32 s10, 0x923c349f
	s_mov_b32 s11, 0xbfeec746
	;; [unrolled: 1-line block ×4, first 2 shown]
	v_add_co_u32 v8, vcc_lo, v4, v0
	v_add_co_ci_u32_e32 v9, vcc_lo, v5, v1, vcc_lo
	global_load_dwordx4 v[0:3], v[8:9], off
	s_waitcnt vmcnt(0)
	v_mul_f64 v[4:5], v[2:3], v[12:13]
	v_fma_f64 v[4:5], v[0:1], v[10:11], v[4:5]
	v_mul_f64 v[0:1], v[0:1], v[12:13]
	buffer_store_dword v10, off, s[60:63], 0 offset:28 ; 4-byte Folded Spill
	buffer_store_dword v11, off, s[60:63], 0 offset:32 ; 4-byte Folded Spill
	;; [unrolled: 1-line block ×4, first 2 shown]
	v_fma_f64 v[6:7], v[2:3], v[10:11], -v[0:1]
	ds_write_b128 v248, v[4:7]
	v_add_co_u32 v4, vcc_lo, v8, s8
	v_add_co_ci_u32_e32 v5, vcc_lo, s9, v9, vcc_lo
	global_load_dwordx4 v[0:3], v[4:5], off
	global_load_dwordx4 v[10:13], v248, s[0:1] offset:1632
	v_add_co_u32 v4, vcc_lo, v4, s8
	v_add_co_ci_u32_e32 v5, vcc_lo, s9, v5, vcc_lo
	s_mov_b32 s0, 0x3259b75e
	s_mov_b32 s1, 0x3fb79ee6
	s_waitcnt vmcnt(0)
	v_mul_f64 v[6:7], v[2:3], v[12:13]
	v_fma_f64 v[8:9], v[0:1], v[10:11], v[6:7]
	v_mul_f64 v[0:1], v[0:1], v[12:13]
	buffer_store_dword v10, off, s[60:63], 0 offset:44 ; 4-byte Folded Spill
	buffer_store_dword v11, off, s[60:63], 0 offset:48 ; 4-byte Folded Spill
	;; [unrolled: 1-line block ×4, first 2 shown]
	v_add_co_u32 v6, vcc_lo, 0x800, v240
	v_add_co_ci_u32_e32 v7, vcc_lo, 0, v241, vcc_lo
	v_fma_f64 v[10:11], v[2:3], v[10:11], -v[0:1]
	global_load_dwordx4 v[0:3], v[4:5], off
	v_add_co_u32 v4, vcc_lo, v4, s8
	v_add_co_ci_u32_e32 v5, vcc_lo, s9, v5, vcc_lo
	ds_write_b128 v248, v[8:11] offset:1632
	global_load_dwordx4 v[8:11], v[6:7], off offset:1216
	s_waitcnt vmcnt(0)
	v_mul_f64 v[6:7], v[2:3], v[10:11]
	v_fma_f64 v[12:13], v[0:1], v[8:9], v[6:7]
	v_mul_f64 v[0:1], v[0:1], v[10:11]
	buffer_store_dword v8, off, s[60:63], 0 offset:60 ; 4-byte Folded Spill
	buffer_store_dword v9, off, s[60:63], 0 offset:64 ; 4-byte Folded Spill
	buffer_store_dword v10, off, s[60:63], 0 offset:68 ; 4-byte Folded Spill
	buffer_store_dword v11, off, s[60:63], 0 offset:72 ; 4-byte Folded Spill
	v_add_co_u32 v6, vcc_lo, 0x1000, v240
	v_add_co_ci_u32_e32 v7, vcc_lo, 0, v241, vcc_lo
	v_fma_f64 v[14:15], v[2:3], v[8:9], -v[0:1]
	global_load_dwordx4 v[0:3], v[4:5], off
	global_load_dwordx4 v[8:11], v[6:7], off offset:800
	v_add_co_u32 v4, vcc_lo, v4, s8
	v_add_co_ci_u32_e32 v5, vcc_lo, s9, v5, vcc_lo
	ds_write_b128 v248, v[12:15] offset:3264
	s_waitcnt vmcnt(0)
	v_mul_f64 v[6:7], v[2:3], v[10:11]
	v_fma_f64 v[16:17], v[0:1], v[8:9], v[6:7]
	v_mul_f64 v[0:1], v[0:1], v[10:11]
	buffer_store_dword v8, off, s[60:63], 0 offset:76 ; 4-byte Folded Spill
	buffer_store_dword v9, off, s[60:63], 0 offset:80 ; 4-byte Folded Spill
	;; [unrolled: 1-line block ×4, first 2 shown]
	v_add_co_u32 v6, vcc_lo, 0x1800, v240
	v_add_co_ci_u32_e32 v7, vcc_lo, 0, v241, vcc_lo
	global_load_dwordx4 v[10:13], v[6:7], off offset:384
	v_fma_f64 v[18:19], v[2:3], v[8:9], -v[0:1]
	global_load_dwordx4 v[0:3], v[4:5], off
	v_add_co_u32 v4, vcc_lo, v4, s8
	v_add_co_ci_u32_e32 v5, vcc_lo, s9, v5, vcc_lo
	ds_write_b128 v248, v[16:19] offset:4896
	s_waitcnt vmcnt(0)
	v_mul_f64 v[8:9], v[2:3], v[12:13]
	v_fma_f64 v[20:21], v[0:1], v[10:11], v[8:9]
	v_mul_f64 v[0:1], v[0:1], v[12:13]
	buffer_store_dword v10, off, s[60:63], 0 offset:92 ; 4-byte Folded Spill
	buffer_store_dword v11, off, s[60:63], 0 offset:96 ; 4-byte Folded Spill
	;; [unrolled: 1-line block ×4, first 2 shown]
	v_fma_f64 v[22:23], v[2:3], v[10:11], -v[0:1]
	ds_write_b128 v248, v[20:23] offset:6528
	global_load_dwordx4 v[0:3], v[4:5], off
	global_load_dwordx4 v[8:11], v[6:7], off offset:2016
	v_add_co_u32 v4, vcc_lo, v4, s8
	v_add_co_ci_u32_e32 v5, vcc_lo, s9, v5, vcc_lo
	s_waitcnt vmcnt(0)
	v_mul_f64 v[6:7], v[2:3], v[10:11]
	v_fma_f64 v[24:25], v[0:1], v[8:9], v[6:7]
	v_mul_f64 v[0:1], v[0:1], v[10:11]
	buffer_store_dword v8, off, s[60:63], 0 offset:108 ; 4-byte Folded Spill
	buffer_store_dword v9, off, s[60:63], 0 offset:112 ; 4-byte Folded Spill
	buffer_store_dword v10, off, s[60:63], 0 offset:116 ; 4-byte Folded Spill
	buffer_store_dword v11, off, s[60:63], 0 offset:120 ; 4-byte Folded Spill
	v_add_co_u32 v6, vcc_lo, 0x2000, v240
	v_add_co_ci_u32_e32 v7, vcc_lo, 0, v241, vcc_lo
	v_fma_f64 v[26:27], v[2:3], v[8:9], -v[0:1]
	global_load_dwordx4 v[0:3], v[4:5], off
	global_load_dwordx4 v[8:11], v[6:7], off offset:1600
	v_add_co_u32 v4, vcc_lo, v4, s8
	v_add_co_ci_u32_e32 v5, vcc_lo, s9, v5, vcc_lo
	ds_write_b128 v248, v[24:27] offset:8160
	s_waitcnt vmcnt(0)
	v_mul_f64 v[6:7], v[2:3], v[10:11]
	v_fma_f64 v[24:25], v[0:1], v[8:9], v[6:7]
	v_mul_f64 v[0:1], v[0:1], v[10:11]
	buffer_store_dword v8, off, s[60:63], 0 offset:156 ; 4-byte Folded Spill
	buffer_store_dword v9, off, s[60:63], 0 offset:160 ; 4-byte Folded Spill
	buffer_store_dword v10, off, s[60:63], 0 offset:164 ; 4-byte Folded Spill
	buffer_store_dword v11, off, s[60:63], 0 offset:168 ; 4-byte Folded Spill
	v_add_co_u32 v6, vcc_lo, 0x2800, v240
	v_add_co_ci_u32_e32 v7, vcc_lo, 0, v241, vcc_lo
	v_fma_f64 v[26:27], v[2:3], v[8:9], -v[0:1]
	global_load_dwordx4 v[0:3], v[4:5], off
	global_load_dwordx4 v[8:11], v[6:7], off offset:1184
	v_add_co_u32 v4, vcc_lo, v4, s8
	v_add_co_ci_u32_e32 v5, vcc_lo, s9, v5, vcc_lo
	ds_write_b128 v248, v[24:27] offset:9792
	;; [unrolled: 16-line block ×3, first 2 shown]
	s_waitcnt vmcnt(0)
	v_mul_f64 v[6:7], v[2:3], v[10:11]
	v_fma_f64 v[24:25], v[0:1], v[8:9], v[6:7]
	v_mul_f64 v[0:1], v[0:1], v[10:11]
	buffer_store_dword v8, off, s[60:63], 0 offset:188 ; 4-byte Folded Spill
	buffer_store_dword v9, off, s[60:63], 0 offset:192 ; 4-byte Folded Spill
	;; [unrolled: 1-line block ×4, first 2 shown]
	v_add_co_u32 v6, vcc_lo, 0x3800, v240
	v_add_co_ci_u32_e32 v7, vcc_lo, 0, v241, vcc_lo
	global_load_dwordx4 v[10:13], v[6:7], off offset:352
	v_fma_f64 v[26:27], v[2:3], v[8:9], -v[0:1]
	global_load_dwordx4 v[0:3], v[4:5], off
	v_add_co_u32 v4, vcc_lo, v4, s8
	v_add_co_ci_u32_e32 v5, vcc_lo, s9, v5, vcc_lo
	ds_write_b128 v248, v[24:27] offset:13056
	s_waitcnt vmcnt(0)
	v_mul_f64 v[8:9], v[2:3], v[12:13]
	v_fma_f64 v[28:29], v[0:1], v[10:11], v[8:9]
	v_mul_f64 v[0:1], v[0:1], v[12:13]
	buffer_store_dword v10, off, s[60:63], 0 offset:124 ; 4-byte Folded Spill
	buffer_store_dword v11, off, s[60:63], 0 offset:128 ; 4-byte Folded Spill
	buffer_store_dword v12, off, s[60:63], 0 offset:132 ; 4-byte Folded Spill
	buffer_store_dword v13, off, s[60:63], 0 offset:136 ; 4-byte Folded Spill
	v_fma_f64 v[30:31], v[2:3], v[10:11], -v[0:1]
	ds_write_b128 v248, v[28:31] offset:14688
	global_load_dwordx4 v[0:3], v[4:5], off
	global_load_dwordx4 v[8:11], v[6:7], off offset:1984
	v_add_co_u32 v4, vcc_lo, v4, s8
	v_add_co_ci_u32_e32 v5, vcc_lo, s9, v5, vcc_lo
	s_waitcnt vmcnt(0)
	v_mul_f64 v[6:7], v[2:3], v[10:11]
	v_fma_f64 v[44:45], v[0:1], v[8:9], v[6:7]
	v_mul_f64 v[0:1], v[0:1], v[10:11]
	buffer_store_dword v8, off, s[60:63], 0 offset:140 ; 4-byte Folded Spill
	buffer_store_dword v9, off, s[60:63], 0 offset:144 ; 4-byte Folded Spill
	buffer_store_dword v10, off, s[60:63], 0 offset:148 ; 4-byte Folded Spill
	buffer_store_dword v11, off, s[60:63], 0 offset:152 ; 4-byte Folded Spill
	v_add_co_u32 v6, vcc_lo, 0x4000, v240
	v_add_co_ci_u32_e32 v7, vcc_lo, 0, v241, vcc_lo
	v_fma_f64 v[46:47], v[2:3], v[8:9], -v[0:1]
	global_load_dwordx4 v[0:3], v[4:5], off
	global_load_dwordx4 v[8:11], v[6:7], off offset:1568
	v_add_co_u32 v4, vcc_lo, v4, s8
	v_add_co_ci_u32_e32 v5, vcc_lo, s9, v5, vcc_lo
	ds_write_b128 v248, v[44:47] offset:16320
	s_waitcnt vmcnt(0)
	v_mul_f64 v[6:7], v[2:3], v[10:11]
	v_fma_f64 v[48:49], v[0:1], v[8:9], v[6:7]
	v_mul_f64 v[0:1], v[0:1], v[10:11]
	buffer_store_dword v8, off, s[60:63], 0 offset:204 ; 4-byte Folded Spill
	buffer_store_dword v9, off, s[60:63], 0 offset:208 ; 4-byte Folded Spill
	buffer_store_dword v10, off, s[60:63], 0 offset:212 ; 4-byte Folded Spill
	buffer_store_dword v11, off, s[60:63], 0 offset:216 ; 4-byte Folded Spill
	v_add_co_u32 v6, vcc_lo, 0x4800, v240
	v_add_co_ci_u32_e32 v7, vcc_lo, 0, v241, vcc_lo
	v_fma_f64 v[50:51], v[2:3], v[8:9], -v[0:1]
	global_load_dwordx4 v[0:3], v[4:5], off
	global_load_dwordx4 v[8:11], v[6:7], off offset:1152
	v_add_co_u32 v4, vcc_lo, v4, s8
	v_add_co_ci_u32_e32 v5, vcc_lo, s9, v5, vcc_lo
	ds_write_b128 v248, v[48:51] offset:17952
	;; [unrolled: 16-line block ×3, first 2 shown]
	s_waitcnt vmcnt(0)
	v_mul_f64 v[6:7], v[2:3], v[10:11]
	v_fma_f64 v[56:57], v[0:1], v[8:9], v[6:7]
	v_mul_f64 v[0:1], v[0:1], v[10:11]
	buffer_store_dword v8, off, s[60:63], 0 offset:236 ; 4-byte Folded Spill
	buffer_store_dword v9, off, s[60:63], 0 offset:240 ; 4-byte Folded Spill
	;; [unrolled: 1-line block ×4, first 2 shown]
	v_add_co_u32 v6, vcc_lo, 0x5800, v240
	v_add_co_ci_u32_e32 v7, vcc_lo, 0, v241, vcc_lo
	global_load_dwordx4 v[10:13], v[6:7], off offset:320
	v_fma_f64 v[58:59], v[2:3], v[8:9], -v[0:1]
	global_load_dwordx4 v[0:3], v[4:5], off
	v_add_co_u32 v4, vcc_lo, v4, s8
	v_add_co_ci_u32_e32 v5, vcc_lo, s9, v5, vcc_lo
	ds_write_b128 v248, v[56:59] offset:21216
	s_waitcnt vmcnt(0)
	v_mul_f64 v[8:9], v[2:3], v[12:13]
	v_fma_f64 v[60:61], v[0:1], v[10:11], v[8:9]
	v_mul_f64 v[0:1], v[0:1], v[12:13]
	buffer_store_dword v10, off, s[60:63], 0 offset:252 ; 4-byte Folded Spill
	buffer_store_dword v11, off, s[60:63], 0 offset:256 ; 4-byte Folded Spill
	;; [unrolled: 1-line block ×4, first 2 shown]
	v_fma_f64 v[62:63], v[2:3], v[10:11], -v[0:1]
	ds_write_b128 v248, v[60:63] offset:22848
	global_load_dwordx4 v[0:3], v[4:5], off
	global_load_dwordx4 v[8:11], v[6:7], off offset:1952
	s_waitcnt vmcnt(0)
	v_mul_f64 v[6:7], v[2:3], v[10:11]
	v_fma_f64 v[64:65], v[0:1], v[8:9], v[6:7]
	v_mul_f64 v[0:1], v[0:1], v[10:11]
	buffer_store_dword v8, off, s[60:63], 0 offset:268 ; 4-byte Folded Spill
	buffer_store_dword v9, off, s[60:63], 0 offset:272 ; 4-byte Folded Spill
	buffer_store_dword v10, off, s[60:63], 0 offset:276 ; 4-byte Folded Spill
	buffer_store_dword v11, off, s[60:63], 0 offset:280 ; 4-byte Folded Spill
	v_fma_f64 v[66:67], v[2:3], v[8:9], -v[0:1]
	v_add_co_u32 v0, vcc_lo, v4, s8
	v_add_co_ci_u32_e32 v1, vcc_lo, s9, v5, vcc_lo
	v_add_co_u32 v4, vcc_lo, 0x6000, v240
	v_add_co_ci_u32_e32 v5, vcc_lo, 0, v241, vcc_lo
	global_load_dwordx4 v[0:3], v[0:1], off
	s_mov_b32 s8, 0xc61f0d01
	s_mov_b32 s9, 0xbfd183b1
	global_load_dwordx4 v[6:9], v[4:5], off offset:1536
	v_cmp_gt_u16_e32 vcc_lo, 0x55, v232
	ds_write_b128 v248, v[64:67] offset:24480
	s_waitcnt vmcnt(0)
	v_mul_f64 v[4:5], v[2:3], v[8:9]
	v_fma_f64 v[68:69], v[0:1], v[6:7], v[4:5]
	v_mul_f64 v[0:1], v[0:1], v[8:9]
	buffer_store_dword v6, off, s[60:63], 0 offset:284 ; 4-byte Folded Spill
	buffer_store_dword v7, off, s[60:63], 0 offset:288 ; 4-byte Folded Spill
	;; [unrolled: 1-line block ×4, first 2 shown]
	v_fma_f64 v[70:71], v[2:3], v[6:7], -v[0:1]
	ds_write_b128 v248, v[68:71] offset:26112
	s_waitcnt lgkmcnt(0)
	s_waitcnt_vscnt null, 0x0
	s_barrier
	buffer_gl0_inv
	ds_read_b128 v[0:3], v248
	ds_read_b128 v[112:115], v248 offset:1632
	ds_read_b128 v[116:119], v248 offset:3264
	;; [unrolled: 1-line block ×16, first 2 shown]
	s_waitcnt lgkmcnt(0)
	s_barrier
	buffer_gl0_inv
	v_add_f64 v[4:5], v[0:1], v[112:113]
	v_add_f64 v[6:7], v[2:3], v[114:115]
	v_add_f64 v[10:11], v[114:115], -v[134:135]
	v_add_f64 v[8:9], v[112:113], -v[132:133]
	v_add_f64 v[4:5], v[4:5], v[116:117]
	v_add_f64 v[6:7], v[6:7], v[118:119]
	v_mul_f64 v[12:13], v[10:11], s[42:43]
	v_mul_f64 v[20:21], v[10:11], s[48:49]
	;; [unrolled: 1-line block ×7, first 2 shown]
	v_add_f64 v[4:5], v[4:5], v[120:121]
	v_add_f64 v[6:7], v[6:7], v[122:123]
	v_mul_f64 v[24:25], v[8:9], s[48:49]
	v_mul_f64 v[140:141], v[8:9], s[44:45]
	;; [unrolled: 1-line block ×5, first 2 shown]
	v_add_f64 v[4:5], v[4:5], v[104:105]
	v_add_f64 v[6:7], v[6:7], v[106:107]
	v_add_f64 v[4:5], v[4:5], v[96:97]
	v_add_f64 v[6:7], v[6:7], v[98:99]
	v_add_f64 v[4:5], v[4:5], v[88:89]
	v_add_f64 v[6:7], v[6:7], v[90:91]
	v_add_f64 v[4:5], v[4:5], v[80:81]
	v_add_f64 v[6:7], v[6:7], v[82:83]
	v_add_f64 v[4:5], v[4:5], v[72:73]
	v_add_f64 v[6:7], v[6:7], v[74:75]
	v_add_f64 v[4:5], v[4:5], v[76:77]
	v_add_f64 v[6:7], v[6:7], v[78:79]
	v_add_f64 v[4:5], v[4:5], v[84:85]
	v_add_f64 v[6:7], v[6:7], v[86:87]
	v_add_f64 v[4:5], v[4:5], v[92:93]
	v_add_f64 v[6:7], v[6:7], v[94:95]
	v_add_f64 v[4:5], v[4:5], v[100:101]
	v_add_f64 v[6:7], v[6:7], v[102:103]
	v_add_f64 v[4:5], v[4:5], v[108:109]
	v_add_f64 v[6:7], v[6:7], v[110:111]
	v_add_f64 v[4:5], v[4:5], v[124:125]
	v_add_f64 v[6:7], v[6:7], v[126:127]
	v_add_f64 v[4:5], v[4:5], v[128:129]
	v_add_f64 v[6:7], v[6:7], v[130:131]
	v_add_f64 v[68:69], v[4:5], v[132:133]
	v_add_f64 v[4:5], v[112:113], v[132:133]
	v_mul_f64 v[112:113], v[10:11], s[52:53]
	v_mul_f64 v[10:11], v[10:11], s[40:41]
	v_add_f64 v[70:71], v[6:7], v[134:135]
	v_add_f64 v[6:7], v[114:115], v[134:135]
	v_mul_f64 v[132:133], v[8:9], s[52:53]
	v_mul_f64 v[8:9], v[8:9], s[40:41]
	v_fma_f64 v[14:15], v[4:5], s[34:35], -v[12:13]
	v_fma_f64 v[12:13], v[4:5], s[34:35], v[12:13]
	v_fma_f64 v[22:23], v[4:5], s[24:25], -v[20:21]
	v_fma_f64 v[20:21], v[4:5], s[24:25], v[20:21]
	;; [unrolled: 2-line block ×8, first 2 shown]
	v_fma_f64 v[18:19], v[6:7], s[34:35], v[16:17]
	v_fma_f64 v[16:17], v[6:7], s[34:35], -v[16:17]
	v_fma_f64 v[26:27], v[6:7], s[24:25], v[24:25]
	v_fma_f64 v[24:25], v[6:7], s[24:25], -v[24:25]
	;; [unrolled: 2-line block ×3, first 2 shown]
	v_add_f64 v[14:15], v[0:1], v[14:15]
	v_add_f64 v[12:13], v[0:1], v[12:13]
	;; [unrolled: 1-line block ×7, first 2 shown]
	v_fma_f64 v[142:143], v[6:7], s[0:1], v[140:141]
	v_add_f64 v[136:137], v[0:1], v[136:137]
	v_fma_f64 v[140:141], v[6:7], s[0:1], -v[140:141]
	v_add_f64 v[146:147], v[0:1], v[146:147]
	v_fma_f64 v[150:151], v[6:7], s[8:9], v[148:149]
	v_add_f64 v[144:145], v[0:1], v[144:145]
	v_fma_f64 v[148:149], v[6:7], s[8:9], -v[148:149]
	v_add_f64 v[154:155], v[0:1], v[154:155]
	;; [unrolled: 4-line block ×4, first 2 shown]
	v_fma_f64 v[170:171], v[6:7], s[38:39], v[8:9]
	v_add_f64 v[0:1], v[0:1], v[4:5]
	v_fma_f64 v[4:5], v[6:7], s[38:39], -v[8:9]
	v_add_f64 v[10:11], v[118:119], -v[130:131]
	v_add_f64 v[18:19], v[2:3], v[18:19]
	v_add_f64 v[16:17], v[2:3], v[16:17]
	;; [unrolled: 1-line block ×11, first 2 shown]
	v_add_f64 v[8:9], v[116:117], -v[128:129]
	v_add_f64 v[156:157], v[2:3], v[156:157]
	v_add_f64 v[6:7], v[118:119], v[130:131]
	;; [unrolled: 1-line block ×7, first 2 shown]
	v_mul_f64 v[116:117], v[10:11], s[48:49]
	v_fma_f64 v[118:119], v[4:5], s[24:25], -v[116:117]
	v_fma_f64 v[116:117], v[4:5], s[24:25], v[116:117]
	v_add_f64 v[14:15], v[118:119], v[14:15]
	v_mul_f64 v[118:119], v[8:9], s[48:49]
	v_add_f64 v[12:13], v[116:117], v[12:13]
	v_fma_f64 v[116:117], v[6:7], s[24:25], -v[118:119]
	v_fma_f64 v[128:129], v[6:7], s[24:25], v[118:119]
	v_add_f64 v[16:17], v[116:117], v[16:17]
	v_mul_f64 v[116:117], v[10:11], s[44:45]
	v_add_f64 v[18:19], v[128:129], v[18:19]
	v_fma_f64 v[118:119], v[4:5], s[0:1], -v[116:117]
	v_fma_f64 v[116:117], v[4:5], s[0:1], v[116:117]
	v_add_f64 v[22:23], v[118:119], v[22:23]
	v_mul_f64 v[118:119], v[8:9], s[44:45]
	v_add_f64 v[20:21], v[116:117], v[20:21]
	v_fma_f64 v[116:117], v[6:7], s[0:1], -v[118:119]
	v_fma_f64 v[128:129], v[6:7], s[0:1], v[118:119]
	v_add_f64 v[24:25], v[116:117], v[24:25]
	v_mul_f64 v[116:117], v[10:11], s[22:23]
	v_add_f64 v[26:27], v[128:129], v[26:27]
	v_fma_f64 v[118:119], v[4:5], s[18:19], -v[116:117]
	v_fma_f64 v[116:117], v[4:5], s[18:19], v[116:117]
	v_add_f64 v[114:115], v[118:119], v[114:115]
	v_mul_f64 v[118:119], v[8:9], s[22:23]
	v_add_f64 v[112:113], v[116:117], v[112:113]
	v_fma_f64 v[128:129], v[6:7], s[18:19], v[118:119]
	v_fma_f64 v[116:117], v[6:7], s[18:19], -v[118:119]
	v_mul_f64 v[118:119], v[10:11], s[40:41]
	v_add_f64 v[128:129], v[128:129], v[134:135]
	v_add_f64 v[116:117], v[116:117], v[132:133]
	v_fma_f64 v[130:131], v[4:5], s[38:39], -v[118:119]
	v_fma_f64 v[118:119], v[4:5], s[38:39], v[118:119]
	v_mul_f64 v[132:133], v[8:9], s[40:41]
	v_add_f64 v[130:131], v[130:131], v[138:139]
	v_add_f64 v[118:119], v[118:119], v[136:137]
	v_mul_f64 v[136:137], v[10:11], s[54:55]
	v_fma_f64 v[134:135], v[6:7], s[38:39], v[132:133]
	v_fma_f64 v[132:133], v[6:7], s[38:39], -v[132:133]
	v_fma_f64 v[138:139], v[4:5], s[26:27], -v[136:137]
	v_fma_f64 v[136:137], v[4:5], s[26:27], v[136:137]
	v_add_f64 v[132:133], v[132:133], v[140:141]
	v_mul_f64 v[140:141], v[8:9], s[54:55]
	v_add_f64 v[134:135], v[134:135], v[142:143]
	v_add_f64 v[138:139], v[138:139], v[146:147]
	;; [unrolled: 1-line block ×3, first 2 shown]
	v_mul_f64 v[144:145], v[10:11], s[50:51]
	v_fma_f64 v[142:143], v[6:7], s[26:27], v[140:141]
	v_fma_f64 v[140:141], v[6:7], s[26:27], -v[140:141]
	v_fma_f64 v[146:147], v[4:5], s[8:9], -v[144:145]
	v_fma_f64 v[144:145], v[4:5], s[8:9], v[144:145]
	v_add_f64 v[140:141], v[140:141], v[148:149]
	v_mul_f64 v[148:149], v[8:9], s[50:51]
	v_add_f64 v[142:143], v[142:143], v[150:151]
	v_add_f64 v[146:147], v[146:147], v[154:155]
	;; [unrolled: 1-line block ×3, first 2 shown]
	v_mul_f64 v[152:153], v[10:11], s[20:21]
	v_fma_f64 v[150:151], v[6:7], s[8:9], v[148:149]
	v_fma_f64 v[148:149], v[6:7], s[8:9], -v[148:149]
	v_mul_f64 v[10:11], v[10:11], s[36:37]
	v_fma_f64 v[154:155], v[4:5], s[14:15], -v[152:153]
	v_fma_f64 v[152:153], v[4:5], s[14:15], v[152:153]
	v_add_f64 v[148:149], v[148:149], v[156:157]
	v_mul_f64 v[156:157], v[8:9], s[20:21]
	v_mul_f64 v[8:9], v[8:9], s[36:37]
	v_add_f64 v[150:151], v[150:151], v[158:159]
	v_add_f64 v[154:155], v[154:155], v[162:163]
	;; [unrolled: 1-line block ×3, first 2 shown]
	v_fma_f64 v[160:161], v[4:5], s[34:35], -v[10:11]
	v_fma_f64 v[4:5], v[4:5], s[34:35], v[10:11]
	v_add_f64 v[10:11], v[122:123], -v[126:127]
	v_fma_f64 v[162:163], v[6:7], s[34:35], v[8:9]
	v_fma_f64 v[158:159], v[6:7], s[14:15], v[156:157]
	v_fma_f64 v[156:157], v[6:7], s[14:15], -v[156:157]
	v_add_f64 v[160:161], v[160:161], v[168:169]
	v_add_f64 v[0:1], v[4:5], v[0:1]
	v_fma_f64 v[4:5], v[6:7], s[34:35], -v[8:9]
	v_add_f64 v[8:9], v[120:121], -v[124:125]
	v_add_f64 v[6:7], v[122:123], v[126:127]
	v_add_f64 v[156:157], v[156:157], v[164:165]
	;; [unrolled: 1-line block ×6, first 2 shown]
	v_mul_f64 v[120:121], v[10:11], s[52:53]
	v_mul_f64 v[126:127], v[8:9], s[50:51]
	v_fma_f64 v[122:123], v[4:5], s[14:15], -v[120:121]
	v_fma_f64 v[120:121], v[4:5], s[14:15], v[120:121]
	v_add_f64 v[14:15], v[122:123], v[14:15]
	v_mul_f64 v[122:123], v[8:9], s[52:53]
	v_add_f64 v[12:13], v[120:121], v[12:13]
	v_fma_f64 v[120:121], v[6:7], s[14:15], -v[122:123]
	v_fma_f64 v[124:125], v[6:7], s[14:15], v[122:123]
	v_add_f64 v[16:17], v[120:121], v[16:17]
	v_mul_f64 v[120:121], v[10:11], s[22:23]
	v_add_f64 v[18:19], v[124:125], v[18:19]
	;; [unrolled: 5-line block ×6, first 2 shown]
	v_fma_f64 v[128:129], v[6:7], s[8:9], v[126:127]
	v_fma_f64 v[122:123], v[4:5], s[8:9], -v[120:121]
	v_fma_f64 v[120:121], v[4:5], s[8:9], v[120:121]
	v_add_f64 v[128:129], v[128:129], v[134:135]
	v_add_f64 v[122:123], v[122:123], v[130:131]
	;; [unrolled: 1-line block ×3, first 2 shown]
	v_fma_f64 v[120:121], v[6:7], s[8:9], -v[126:127]
	v_mul_f64 v[126:127], v[10:11], s[30:31]
	v_add_f64 v[120:121], v[120:121], v[132:133]
	v_fma_f64 v[130:131], v[4:5], s[24:25], -v[126:127]
	v_fma_f64 v[126:127], v[4:5], s[24:25], v[126:127]
	v_mul_f64 v[132:133], v[8:9], s[30:31]
	v_add_f64 v[130:131], v[130:131], v[138:139]
	v_add_f64 v[126:127], v[126:127], v[136:137]
	v_mul_f64 v[136:137], v[10:11], s[42:43]
	v_fma_f64 v[134:135], v[6:7], s[24:25], v[132:133]
	v_fma_f64 v[132:133], v[6:7], s[24:25], -v[132:133]
	v_fma_f64 v[138:139], v[4:5], s[34:35], -v[136:137]
	v_fma_f64 v[136:137], v[4:5], s[34:35], v[136:137]
	v_add_f64 v[132:133], v[132:133], v[140:141]
	v_mul_f64 v[140:141], v[8:9], s[42:43]
	v_add_f64 v[134:135], v[134:135], v[142:143]
	v_add_f64 v[138:139], v[138:139], v[146:147]
	;; [unrolled: 1-line block ×3, first 2 shown]
	v_mul_f64 v[144:145], v[10:11], s[44:45]
	v_fma_f64 v[142:143], v[6:7], s[34:35], v[140:141]
	v_fma_f64 v[140:141], v[6:7], s[34:35], -v[140:141]
	v_mul_f64 v[10:11], v[10:11], s[28:29]
	v_fma_f64 v[146:147], v[4:5], s[0:1], -v[144:145]
	v_fma_f64 v[144:145], v[4:5], s[0:1], v[144:145]
	v_add_f64 v[140:141], v[140:141], v[148:149]
	v_mul_f64 v[148:149], v[8:9], s[44:45]
	v_mul_f64 v[8:9], v[8:9], s[28:29]
	v_add_f64 v[142:143], v[142:143], v[150:151]
	v_add_f64 v[146:147], v[146:147], v[154:155]
	;; [unrolled: 1-line block ×3, first 2 shown]
	v_fma_f64 v[152:153], v[4:5], s[26:27], -v[10:11]
	v_fma_f64 v[4:5], v[4:5], s[26:27], v[10:11]
	v_add_f64 v[10:11], v[106:107], -v[110:111]
	v_fma_f64 v[154:155], v[6:7], s[26:27], v[8:9]
	v_fma_f64 v[150:151], v[6:7], s[0:1], v[148:149]
	v_fma_f64 v[148:149], v[6:7], s[0:1], -v[148:149]
	v_add_f64 v[152:153], v[152:153], v[160:161]
	v_add_f64 v[0:1], v[4:5], v[0:1]
	v_fma_f64 v[4:5], v[6:7], s[26:27], -v[8:9]
	v_add_f64 v[8:9], v[104:105], -v[108:109]
	v_add_f64 v[6:7], v[106:107], v[110:111]
	v_add_f64 v[148:149], v[148:149], v[156:157]
	;; [unrolled: 1-line block ×6, first 2 shown]
	v_mul_f64 v[104:105], v[10:11], s[44:45]
	v_fma_f64 v[106:107], v[4:5], s[0:1], -v[104:105]
	v_fma_f64 v[104:105], v[4:5], s[0:1], v[104:105]
	v_add_f64 v[14:15], v[106:107], v[14:15]
	v_mul_f64 v[106:107], v[8:9], s[44:45]
	v_add_f64 v[12:13], v[104:105], v[12:13]
	v_fma_f64 v[104:105], v[6:7], s[0:1], -v[106:107]
	v_fma_f64 v[108:109], v[6:7], s[0:1], v[106:107]
	v_add_f64 v[16:17], v[104:105], v[16:17]
	v_mul_f64 v[104:105], v[10:11], s[40:41]
	v_add_f64 v[18:19], v[108:109], v[18:19]
	v_fma_f64 v[106:107], v[4:5], s[38:39], -v[104:105]
	v_fma_f64 v[104:105], v[4:5], s[38:39], v[104:105]
	v_add_f64 v[22:23], v[106:107], v[22:23]
	v_mul_f64 v[106:107], v[8:9], s[40:41]
	v_add_f64 v[20:21], v[104:105], v[20:21]
	v_fma_f64 v[104:105], v[6:7], s[38:39], -v[106:107]
	v_fma_f64 v[108:109], v[6:7], s[38:39], v[106:107]
	v_add_f64 v[24:25], v[104:105], v[24:25]
	v_mul_f64 v[104:105], v[10:11], s[50:51]
	v_add_f64 v[26:27], v[108:109], v[26:27]
	v_mul_f64 v[108:109], v[8:9], s[50:51]
	v_fma_f64 v[106:107], v[4:5], s[8:9], -v[104:105]
	v_fma_f64 v[104:105], v[4:5], s[8:9], v[104:105]
	v_fma_f64 v[110:111], v[6:7], s[8:9], v[108:109]
	v_fma_f64 v[108:109], v[6:7], s[8:9], -v[108:109]
	v_add_f64 v[106:107], v[106:107], v[114:115]
	v_add_f64 v[104:105], v[104:105], v[112:113]
	v_mul_f64 v[112:113], v[10:11], s[36:37]
	v_add_f64 v[108:109], v[108:109], v[116:117]
	v_mul_f64 v[116:117], v[8:9], s[36:37]
	;; [unrolled: 2-line block ×3, first 2 shown]
	v_fma_f64 v[114:115], v[4:5], s[34:35], -v[112:113]
	v_fma_f64 v[112:113], v[4:5], s[34:35], v[112:113]
	v_add_f64 v[114:115], v[114:115], v[122:123]
	v_fma_f64 v[122:123], v[6:7], s[34:35], v[116:117]
	v_add_f64 v[112:113], v[112:113], v[118:119]
	v_fma_f64 v[116:117], v[6:7], s[34:35], -v[116:117]
	v_mul_f64 v[118:119], v[10:11], s[52:53]
	v_add_f64 v[122:123], v[122:123], v[128:129]
	v_fma_f64 v[128:129], v[6:7], s[14:15], v[124:125]
	v_add_f64 v[116:117], v[116:117], v[120:121]
	v_fma_f64 v[120:121], v[4:5], s[14:15], -v[118:119]
	v_fma_f64 v[118:119], v[4:5], s[14:15], v[118:119]
	v_fma_f64 v[124:125], v[6:7], s[14:15], -v[124:125]
	v_add_f64 v[128:129], v[128:129], v[134:135]
	v_add_f64 v[120:121], v[120:121], v[130:131]
	;; [unrolled: 1-line block ×3, first 2 shown]
	v_mul_f64 v[126:127], v[10:11], s[28:29]
	v_add_f64 v[124:125], v[124:125], v[132:133]
	v_mul_f64 v[132:133], v[8:9], s[28:29]
	v_fma_f64 v[130:131], v[4:5], s[26:27], -v[126:127]
	v_fma_f64 v[126:127], v[4:5], s[26:27], v[126:127]
	v_fma_f64 v[134:135], v[6:7], s[26:27], v[132:133]
	v_fma_f64 v[132:133], v[6:7], s[26:27], -v[132:133]
	v_add_f64 v[130:131], v[130:131], v[138:139]
	v_add_f64 v[126:127], v[126:127], v[136:137]
	v_mul_f64 v[136:137], v[10:11], s[46:47]
	v_mul_f64 v[10:11], v[10:11], s[30:31]
	v_add_f64 v[132:133], v[132:133], v[140:141]
	v_mul_f64 v[140:141], v[8:9], s[46:47]
	v_mul_f64 v[8:9], v[8:9], s[30:31]
	v_add_f64 v[134:135], v[134:135], v[142:143]
	v_fma_f64 v[138:139], v[4:5], s[18:19], -v[136:137]
	v_fma_f64 v[136:137], v[4:5], s[18:19], v[136:137]
	v_fma_f64 v[142:143], v[6:7], s[18:19], v[140:141]
	v_fma_f64 v[140:141], v[6:7], s[18:19], -v[140:141]
	v_add_f64 v[138:139], v[138:139], v[146:147]
	v_add_f64 v[136:137], v[136:137], v[144:145]
	v_fma_f64 v[144:145], v[4:5], s[24:25], -v[10:11]
	v_fma_f64 v[4:5], v[4:5], s[24:25], v[10:11]
	v_add_f64 v[10:11], v[98:99], -v[102:103]
	v_fma_f64 v[146:147], v[6:7], s[24:25], v[8:9]
	v_add_f64 v[140:141], v[140:141], v[148:149]
	v_add_f64 v[142:143], v[142:143], v[150:151]
	;; [unrolled: 1-line block ×4, first 2 shown]
	v_fma_f64 v[4:5], v[6:7], s[24:25], -v[8:9]
	v_add_f64 v[8:9], v[96:97], -v[100:101]
	v_add_f64 v[6:7], v[98:99], v[102:103]
	v_add_f64 v[146:147], v[146:147], v[154:155]
	v_add_f64 v[2:3], v[4:5], v[2:3]
	v_add_f64 v[4:5], v[96:97], v[100:101]
	v_mul_f64 v[96:97], v[10:11], s[10:11]
	v_fma_f64 v[98:99], v[4:5], s[8:9], -v[96:97]
	v_fma_f64 v[96:97], v[4:5], s[8:9], v[96:97]
	v_add_f64 v[14:15], v[98:99], v[14:15]
	v_mul_f64 v[98:99], v[8:9], s[10:11]
	v_add_f64 v[12:13], v[96:97], v[12:13]
	v_fma_f64 v[96:97], v[6:7], s[8:9], -v[98:99]
	v_fma_f64 v[100:101], v[6:7], s[8:9], v[98:99]
	v_add_f64 v[16:17], v[96:97], v[16:17]
	v_mul_f64 v[96:97], v[10:11], s[54:55]
	v_add_f64 v[18:19], v[100:101], v[18:19]
	;; [unrolled: 5-line block ×4, first 2 shown]
	v_mul_f64 v[100:101], v[8:9], s[30:31]
	v_fma_f64 v[98:99], v[4:5], s[24:25], -v[96:97]
	v_fma_f64 v[96:97], v[4:5], s[24:25], v[96:97]
	v_fma_f64 v[102:103], v[6:7], s[24:25], v[100:101]
	v_fma_f64 v[100:101], v[6:7], s[24:25], -v[100:101]
	v_add_f64 v[98:99], v[98:99], v[106:107]
	v_add_f64 v[96:97], v[96:97], v[104:105]
	v_mul_f64 v[104:105], v[10:11], s[52:53]
	v_add_f64 v[100:101], v[100:101], v[108:109]
	v_mul_f64 v[108:109], v[8:9], s[52:53]
	v_add_f64 v[102:103], v[102:103], v[110:111]
	v_fma_f64 v[106:107], v[4:5], s[14:15], -v[104:105]
	v_fma_f64 v[104:105], v[4:5], s[14:15], v[104:105]
	v_fma_f64 v[110:111], v[6:7], s[14:15], v[108:109]
	v_fma_f64 v[108:109], v[6:7], s[14:15], -v[108:109]
	v_add_f64 v[106:107], v[106:107], v[114:115]
	v_add_f64 v[104:105], v[104:105], v[112:113]
	v_mul_f64 v[112:113], v[10:11], s[40:41]
	v_add_f64 v[108:109], v[108:109], v[116:117]
	v_mul_f64 v[116:117], v[8:9], s[40:41]
	v_add_f64 v[110:111], v[110:111], v[122:123]
	v_fma_f64 v[114:115], v[4:5], s[38:39], -v[112:113]
	v_fma_f64 v[112:113], v[4:5], s[38:39], v[112:113]
	v_add_f64 v[114:115], v[114:115], v[120:121]
	v_add_f64 v[112:113], v[112:113], v[118:119]
	v_mul_f64 v[118:119], v[10:11], s[16:17]
	v_fma_f64 v[120:121], v[6:7], s[38:39], v[116:117]
	v_fma_f64 v[116:117], v[6:7], s[38:39], -v[116:117]
	v_fma_f64 v[122:123], v[4:5], s[0:1], -v[118:119]
	v_fma_f64 v[118:119], v[4:5], s[0:1], v[118:119]
	v_add_f64 v[116:117], v[116:117], v[124:125]
	v_mul_f64 v[124:125], v[8:9], s[16:17]
	v_add_f64 v[120:121], v[120:121], v[128:129]
	v_add_f64 v[122:123], v[122:123], v[130:131]
	;; [unrolled: 1-line block ×3, first 2 shown]
	v_mul_f64 v[126:127], v[10:11], s[42:43]
	v_fma_f64 v[128:129], v[6:7], s[0:1], v[124:125]
	v_fma_f64 v[124:125], v[6:7], s[0:1], -v[124:125]
	v_mul_f64 v[10:11], v[10:11], s[22:23]
	v_fma_f64 v[130:131], v[4:5], s[34:35], -v[126:127]
	v_fma_f64 v[126:127], v[4:5], s[34:35], v[126:127]
	v_add_f64 v[124:125], v[124:125], v[132:133]
	v_mul_f64 v[132:133], v[8:9], s[42:43]
	v_mul_f64 v[8:9], v[8:9], s[22:23]
	v_add_f64 v[128:129], v[128:129], v[134:135]
	v_add_f64 v[130:131], v[130:131], v[138:139]
	;; [unrolled: 1-line block ×3, first 2 shown]
	v_fma_f64 v[136:137], v[4:5], s[18:19], -v[10:11]
	v_fma_f64 v[4:5], v[4:5], s[18:19], v[10:11]
	v_add_f64 v[10:11], v[90:91], -v[94:95]
	v_fma_f64 v[138:139], v[6:7], s[18:19], v[8:9]
	v_fma_f64 v[134:135], v[6:7], s[34:35], v[132:133]
	v_fma_f64 v[132:133], v[6:7], s[34:35], -v[132:133]
	v_add_f64 v[136:137], v[136:137], v[144:145]
	v_add_f64 v[0:1], v[4:5], v[0:1]
	v_fma_f64 v[4:5], v[6:7], s[18:19], -v[8:9]
	v_add_f64 v[8:9], v[88:89], -v[92:93]
	v_add_f64 v[6:7], v[90:91], v[94:95]
	v_add_f64 v[132:133], v[132:133], v[140:141]
	;; [unrolled: 1-line block ×6, first 2 shown]
	v_mul_f64 v[88:89], v[10:11], s[22:23]
	v_fma_f64 v[90:91], v[4:5], s[18:19], -v[88:89]
	v_fma_f64 v[88:89], v[4:5], s[18:19], v[88:89]
	v_add_f64 v[14:15], v[90:91], v[14:15]
	v_mul_f64 v[90:91], v[8:9], s[22:23]
	v_add_f64 v[12:13], v[88:89], v[12:13]
	v_fma_f64 v[88:89], v[6:7], s[18:19], -v[90:91]
	v_fma_f64 v[92:93], v[6:7], s[18:19], v[90:91]
	v_add_f64 v[16:17], v[88:89], v[16:17]
	v_mul_f64 v[88:89], v[10:11], s[50:51]
	v_add_f64 v[18:19], v[92:93], v[18:19]
	;; [unrolled: 5-line block ×4, first 2 shown]
	v_mul_f64 v[92:93], v[8:9], s[42:43]
	v_fma_f64 v[90:91], v[4:5], s[34:35], -v[88:89]
	v_fma_f64 v[88:89], v[4:5], s[34:35], v[88:89]
	v_fma_f64 v[94:95], v[6:7], s[34:35], v[92:93]
	v_add_f64 v[90:91], v[90:91], v[98:99]
	v_add_f64 v[96:97], v[88:89], v[96:97]
	v_fma_f64 v[88:89], v[6:7], s[34:35], -v[92:93]
	v_add_f64 v[94:95], v[94:95], v[102:103]
	v_add_f64 v[98:99], v[88:89], v[100:101]
	v_mul_f64 v[88:89], v[10:11], s[28:29]
	v_fma_f64 v[92:93], v[4:5], s[26:27], -v[88:89]
	v_fma_f64 v[88:89], v[4:5], s[26:27], v[88:89]
	v_add_f64 v[100:101], v[92:93], v[106:107]
	v_mul_f64 v[92:93], v[8:9], s[28:29]
	v_add_f64 v[104:105], v[88:89], v[104:105]
	v_fma_f64 v[88:89], v[6:7], s[26:27], -v[92:93]
	v_fma_f64 v[102:103], v[6:7], s[26:27], v[92:93]
	v_add_f64 v[106:107], v[88:89], v[108:109]
	v_mul_f64 v[88:89], v[10:11], s[16:17]
	v_add_f64 v[102:103], v[102:103], v[110:111]
	;; [unrolled: 5-line block ×5, first 2 shown]
	v_fma_f64 v[88:89], v[6:7], s[24:25], -v[92:93]
	v_fma_f64 v[120:121], v[6:7], s[24:25], v[92:93]
	v_add_f64 v[122:123], v[88:89], v[124:125]
	v_mul_f64 v[88:89], v[10:11], s[40:41]
	v_mul_f64 v[10:11], v[10:11], s[20:21]
	v_add_f64 v[120:121], v[120:121], v[128:129]
	v_fma_f64 v[92:93], v[4:5], s[38:39], -v[88:89]
	v_fma_f64 v[88:89], v[4:5], s[38:39], v[88:89]
	v_add_f64 v[124:125], v[92:93], v[130:131]
	v_mul_f64 v[92:93], v[8:9], s[40:41]
	v_add_f64 v[146:147], v[88:89], v[126:127]
	v_mul_f64 v[8:9], v[8:9], s[20:21]
	v_fma_f64 v[88:89], v[6:7], s[38:39], -v[92:93]
	v_fma_f64 v[128:129], v[6:7], s[38:39], v[92:93]
	v_add_f64 v[148:149], v[88:89], v[132:133]
	v_fma_f64 v[88:89], v[4:5], s[14:15], -v[10:11]
	v_fma_f64 v[4:5], v[4:5], s[14:15], v[10:11]
	v_add_f64 v[10:11], v[82:83], -v[86:87]
	v_add_f64 v[144:145], v[128:129], v[134:135]
	v_add_f64 v[150:151], v[88:89], v[136:137]
	;; [unrolled: 1-line block ×3, first 2 shown]
	v_fma_f64 v[4:5], v[6:7], s[14:15], -v[8:9]
	v_fma_f64 v[88:89], v[6:7], s[14:15], v[8:9]
	v_add_f64 v[8:9], v[80:81], -v[84:85]
	v_add_f64 v[6:7], v[82:83], v[86:87]
	v_add_f64 v[2:3], v[4:5], v[2:3]
	;; [unrolled: 1-line block ×3, first 2 shown]
	v_mul_f64 v[80:81], v[10:11], s[28:29]
	v_add_f64 v[152:153], v[88:89], v[138:139]
	v_fma_f64 v[82:83], v[4:5], s[26:27], -v[80:81]
	v_add_f64 v[142:143], v[82:83], v[14:15]
	v_mul_f64 v[14:15], v[8:9], s[28:29]
	v_fma_f64 v[82:83], v[6:7], s[26:27], v[14:15]
	v_add_f64 v[140:141], v[82:83], v[18:19]
	v_fma_f64 v[18:19], v[4:5], s[26:27], v[80:81]
	v_add_f64 v[138:139], v[18:19], v[12:13]
	v_fma_f64 v[12:13], v[6:7], s[26:27], -v[14:15]
	v_add_f64 v[136:137], v[12:13], v[16:17]
	v_mul_f64 v[12:13], v[10:11], s[20:21]
	v_fma_f64 v[14:15], v[4:5], s[14:15], -v[12:13]
	v_fma_f64 v[12:13], v[4:5], s[14:15], v[12:13]
	v_add_f64 v[80:81], v[14:15], v[22:23]
	v_mul_f64 v[14:15], v[8:9], s[20:21]
	v_add_f64 v[84:85], v[12:13], v[20:21]
	v_fma_f64 v[12:13], v[6:7], s[14:15], -v[14:15]
	v_fma_f64 v[16:17], v[6:7], s[14:15], v[14:15]
	v_add_f64 v[86:87], v[12:13], v[24:25]
	v_mul_f64 v[12:13], v[10:11], s[44:45]
	v_add_f64 v[82:83], v[16:17], v[26:27]
	;; [unrolled: 5-line block ×3, first 2 shown]
	v_fma_f64 v[16:17], v[6:7], s[0:1], v[14:15]
	v_fma_f64 v[12:13], v[6:7], s[0:1], -v[14:15]
	v_add_f64 v[90:91], v[16:17], v[94:95]
	v_add_f64 v[94:95], v[12:13], v[98:99]
	v_mul_f64 v[12:13], v[10:11], s[46:47]
	v_fma_f64 v[14:15], v[4:5], s[18:19], -v[12:13]
	v_fma_f64 v[12:13], v[4:5], s[18:19], v[12:13]
	v_add_f64 v[96:97], v[14:15], v[100:101]
	v_mul_f64 v[14:15], v[8:9], s[46:47]
	v_add_f64 v[100:101], v[12:13], v[104:105]
	v_fma_f64 v[16:17], v[6:7], s[18:19], v[14:15]
	v_fma_f64 v[12:13], v[6:7], s[18:19], -v[14:15]
	v_add_f64 v[98:99], v[16:17], v[102:103]
	v_add_f64 v[102:103], v[12:13], v[106:107]
	v_mul_f64 v[12:13], v[10:11], s[42:43]
	v_fma_f64 v[14:15], v[4:5], s[34:35], -v[12:13]
	v_fma_f64 v[12:13], v[4:5], s[34:35], v[12:13]
	v_add_f64 v[104:105], v[14:15], v[108:109]
	v_mul_f64 v[14:15], v[8:9], s[42:43]
	v_add_f64 v[108:109], v[12:13], v[112:113]
	v_fma_f64 v[16:17], v[6:7], s[34:35], v[14:15]
	v_fma_f64 v[12:13], v[6:7], s[34:35], -v[14:15]
	v_add_f64 v[106:107], v[16:17], v[110:111]
	v_add_f64 v[110:111], v[12:13], v[114:115]
	v_mul_f64 v[12:13], v[10:11], s[40:41]
	v_fma_f64 v[14:15], v[4:5], s[38:39], -v[12:13]
	v_fma_f64 v[12:13], v[4:5], s[38:39], v[12:13]
	v_add_f64 v[134:135], v[14:15], v[116:117]
	v_mul_f64 v[14:15], v[8:9], s[40:41]
	v_add_f64 v[130:131], v[12:13], v[118:119]
	v_fma_f64 v[12:13], v[6:7], s[38:39], -v[14:15]
	v_fma_f64 v[16:17], v[6:7], s[38:39], v[14:15]
	v_add_f64 v[128:129], v[12:13], v[122:123]
	v_mul_f64 v[12:13], v[10:11], s[30:31]
	v_mul_f64 v[10:11], v[10:11], s[10:11]
	v_add_f64 v[132:133], v[16:17], v[120:121]
	v_fma_f64 v[14:15], v[4:5], s[24:25], -v[12:13]
	v_fma_f64 v[12:13], v[4:5], s[24:25], v[12:13]
	v_add_f64 v[126:127], v[14:15], v[124:125]
	v_mul_f64 v[14:15], v[8:9], s[30:31]
	v_add_f64 v[122:123], v[12:13], v[146:147]
	v_mul_f64 v[8:9], v[8:9], s[10:11]
	v_add_f64 v[146:147], v[72:73], v[76:77]
	v_fma_f64 v[12:13], v[6:7], s[24:25], -v[14:15]
	v_fma_f64 v[16:17], v[6:7], s[24:25], v[14:15]
	v_add_f64 v[124:125], v[12:13], v[148:149]
	v_fma_f64 v[12:13], v[4:5], s[8:9], -v[10:11]
	v_fma_f64 v[4:5], v[4:5], s[8:9], v[10:11]
	v_add_f64 v[120:121], v[16:17], v[144:145]
	v_add_f64 v[144:145], v[74:75], v[78:79]
	;; [unrolled: 1-line block ×4, first 2 shown]
	v_fma_f64 v[0:1], v[6:7], s[8:9], -v[8:9]
	v_fma_f64 v[12:13], v[6:7], s[8:9], v[8:9]
	v_add_f64 v[112:113], v[0:1], v[2:3]
	v_add_f64 v[2:3], v[74:75], -v[78:79]
	v_add_f64 v[0:1], v[72:73], -v[76:77]
	v_add_f64 v[116:117], v[12:13], v[152:153]
	v_mul_f64 v[4:5], v[2:3], s[40:41]
	v_fma_f64 v[6:7], v[146:147], s[38:39], -v[4:5]
	v_fma_f64 v[4:5], v[146:147], s[38:39], v[4:5]
	v_add_f64 v[72:73], v[6:7], v[142:143]
	v_mul_f64 v[6:7], v[0:1], s[40:41]
	v_add_f64 v[76:77], v[4:5], v[138:139]
	v_fma_f64 v[4:5], v[144:145], s[38:39], -v[6:7]
	v_fma_f64 v[8:9], v[144:145], s[38:39], v[6:7]
	v_add_f64 v[78:79], v[4:5], v[136:137]
	v_mul_f64 v[4:5], v[2:3], s[36:37]
	v_add_f64 v[74:75], v[8:9], v[140:141]
	;; [unrolled: 5-line block ×11, first 2 shown]
	v_fma_f64 v[8:9], v[144:145], s[14:15], v[6:7]
	v_fma_f64 v[4:5], v[144:145], s[14:15], -v[6:7]
	v_add_f64 v[136:137], v[8:9], v[132:133]
	v_add_f64 v[132:133], v[4:5], v[128:129]
	v_mul_f64 v[4:5], v[2:3], s[10:11]
	v_mul_f64 v[2:3], v[2:3], s[16:17]
	v_fma_f64 v[6:7], v[146:147], s[8:9], -v[4:5]
	v_fma_f64 v[4:5], v[146:147], s[8:9], v[4:5]
	v_add_f64 v[126:127], v[6:7], v[126:127]
	v_mul_f64 v[6:7], v[0:1], s[10:11]
	v_fma_f64 v[8:9], v[144:145], s[8:9], v[6:7]
	v_add_f64 v[128:129], v[8:9], v[120:121]
	v_add_f64 v[120:121], v[4:5], v[122:123]
	v_fma_f64 v[4:5], v[144:145], s[8:9], -v[6:7]
	v_add_f64 v[122:123], v[4:5], v[124:125]
	v_fma_f64 v[4:5], v[146:147], s[0:1], -v[2:3]
	v_add_f64 v[138:139], v[4:5], v[118:119]
	v_mul_f64 v[4:5], v[0:1], s[16:17]
	v_fma_f64 v[0:1], v[144:145], s[0:1], v[4:5]
	v_add_f64 v[140:141], v[0:1], v[116:117]
	v_fma_f64 v[0:1], v[146:147], s[0:1], v[2:3]
	v_fma_f64 v[2:3], v[144:145], s[0:1], -v[4:5]
	v_mul_lo_u16 v4, v232, 17
	v_mov_b32_e32 v5, 4
	v_lshlrev_b32_sdwa v249, v5, v4 dst_sel:DWORD dst_unused:UNUSED_PAD src0_sel:DWORD src1_sel:WORD_0
	v_and_b32_e32 v4, 0xff, v232
	v_mul_lo_u16 v4, 0xf1, v4
	v_lshrrev_b16 v233, 12, v4
	v_add_f64 v[0:1], v[0:1], v[114:115]
	v_add_f64 v[2:3], v[2:3], v[112:113]
	v_mul_lo_u16 v4, v233, 17
	ds_write_b128 v249, v[68:71]
	ds_write_b128 v249, v[72:75] offset:16
	ds_write_b128 v249, v[80:83] offset:32
	ds_write_b128 v249, v[88:91] offset:48
	ds_write_b128 v249, v[96:99] offset:64
	ds_write_b128 v249, v[104:107] offset:80
	ds_write_b128 v249, v[134:137] offset:96
	ds_write_b128 v249, v[126:129] offset:112
	ds_write_b128 v249, v[138:141] offset:128
	ds_write_b128 v249, v[0:3] offset:144
	ds_write_b128 v249, v[120:123] offset:160
	ds_write_b128 v249, v[130:133] offset:176
	ds_write_b128 v249, v[108:111] offset:192
	ds_write_b128 v249, v[100:103] offset:208
	ds_write_b128 v249, v[92:95] offset:224
	ds_write_b128 v249, v[84:87] offset:240
	ds_write_b128 v249, v[76:79] offset:256
	v_sub_nc_u16 v4, v232, v4
	s_waitcnt lgkmcnt(0)
	s_barrier
	buffer_gl0_inv
	ds_read_b128 v[136:139], v248
	ds_read_b128 v[0:3], v248 offset:1632
	ds_read_b128 v[80:83], v248 offset:3264
	;; [unrolled: 1-line block ×16, first 2 shown]
	v_and_b32_e32 v234, 0xff, v4
	v_lshlrev_b32_e32 v6, 8, v234
	s_clause 0x3
	global_load_dwordx4 v[68:71], v6, s[2:3] offset:48
	global_load_dwordx4 v[72:75], v6, s[2:3] offset:32
	;; [unrolled: 1-line block ×3, first 2 shown]
	global_load_dwordx4 v[104:107], v6, s[2:3]
	s_waitcnt vmcnt(0) lgkmcnt(15)
	v_mul_f64 v[4:5], v[2:3], v[106:107]
	v_fma_f64 v[4:5], v[0:1], v[104:105], -v[4:5]
	v_mul_f64 v[0:1], v[0:1], v[106:107]
	v_add_f64 v[10:11], v[136:137], v[4:5]
	v_fma_f64 v[196:197], v[2:3], v[104:105], v[0:1]
	s_waitcnt lgkmcnt(14)
	v_mul_f64 v[0:1], v[82:83], v[78:79]
	s_waitcnt lgkmcnt(12)
	v_mul_f64 v[2:3], v[88:89], v[70:71]
	v_add_f64 v[12:13], v[138:139], v[196:197]
	v_fma_f64 v[194:195], v[80:81], v[76:77], -v[0:1]
	v_mul_f64 v[0:1], v[80:81], v[78:79]
	v_fma_f64 v[184:185], v[90:91], v[68:69], v[2:3]
	v_add_f64 v[10:11], v[10:11], v[194:195]
	v_fma_f64 v[192:193], v[82:83], v[76:77], v[0:1]
	v_mul_f64 v[0:1], v[86:87], v[74:75]
	v_add_f64 v[12:13], v[12:13], v[192:193]
	v_fma_f64 v[190:191], v[84:85], v[72:73], -v[0:1]
	v_mul_f64 v[0:1], v[84:85], v[74:75]
	v_add_f64 v[10:11], v[10:11], v[190:191]
	v_fma_f64 v[186:187], v[86:87], v[72:73], v[0:1]
	s_clause 0x3
	global_load_dwordx4 v[80:83], v6, s[2:3] offset:112
	global_load_dwordx4 v[84:87], v6, s[2:3] offset:96
	;; [unrolled: 1-line block ×4, first 2 shown]
	v_mul_f64 v[0:1], v[90:91], v[70:71]
	v_add_f64 v[12:13], v[12:13], v[186:187]
	v_fma_f64 v[0:1], v[88:89], v[68:69], -v[0:1]
	v_add_f64 v[12:13], v[12:13], v[184:185]
	v_add_f64 v[10:11], v[10:11], v[0:1]
	s_waitcnt vmcnt(0) lgkmcnt(11)
	v_mul_f64 v[2:3], v[98:99], v[114:115]
	v_fma_f64 v[180:181], v[96:97], v[112:113], -v[2:3]
	v_mul_f64 v[2:3], v[96:97], v[114:115]
	v_add_f64 v[10:11], v[10:11], v[180:181]
	v_fma_f64 v[176:177], v[98:99], v[112:113], v[2:3]
	s_waitcnt lgkmcnt(10)
	v_mul_f64 v[2:3], v[102:103], v[94:95]
	v_add_f64 v[12:13], v[12:13], v[176:177]
	v_fma_f64 v[172:173], v[100:101], v[92:93], -v[2:3]
	v_mul_f64 v[2:3], v[100:101], v[94:95]
	v_add_f64 v[10:11], v[10:11], v[172:173]
	v_fma_f64 v[168:169], v[102:103], v[92:93], v[2:3]
	s_waitcnt lgkmcnt(9)
	v_mul_f64 v[2:3], v[110:111], v[86:87]
	v_add_f64 v[12:13], v[12:13], v[168:169]
	v_fma_f64 v[164:165], v[108:109], v[84:85], -v[2:3]
	v_mul_f64 v[2:3], v[108:109], v[86:87]
	v_add_f64 v[10:11], v[10:11], v[164:165]
	v_fma_f64 v[160:161], v[110:111], v[84:85], v[2:3]
	s_clause 0x3
	global_load_dwordx4 v[88:91], v6, s[2:3] offset:176
	global_load_dwordx4 v[96:99], v6, s[2:3] offset:160
	;; [unrolled: 1-line block ×4, first 2 shown]
	s_waitcnt lgkmcnt(8)
	v_mul_f64 v[2:3], v[118:119], v[82:83]
	v_add_f64 v[12:13], v[12:13], v[160:161]
	v_fma_f64 v[156:157], v[116:117], v[80:81], -v[2:3]
	v_mul_f64 v[2:3], v[116:117], v[82:83]
	v_add_f64 v[10:11], v[10:11], v[156:157]
	v_fma_f64 v[152:153], v[118:119], v[80:81], v[2:3]
	v_add_f64 v[12:13], v[12:13], v[152:153]
	s_waitcnt vmcnt(0) lgkmcnt(7)
	v_mul_f64 v[2:3], v[122:123], v[126:127]
	v_fma_f64 v[158:159], v[120:121], v[124:125], -v[2:3]
	v_mul_f64 v[2:3], v[120:121], v[126:127]
	v_add_f64 v[10:11], v[10:11], v[158:159]
	v_fma_f64 v[154:155], v[122:123], v[124:125], v[2:3]
	s_waitcnt lgkmcnt(6)
	v_mul_f64 v[2:3], v[130:131], v[110:111]
	v_add_f64 v[12:13], v[12:13], v[154:155]
	v_fma_f64 v[166:167], v[128:129], v[108:109], -v[2:3]
	v_mul_f64 v[2:3], v[128:129], v[110:111]
	v_add_f64 v[10:11], v[10:11], v[166:167]
	v_fma_f64 v[162:163], v[130:131], v[108:109], v[2:3]
	s_clause 0x3
	global_load_dwordx4 v[100:103], v6, s[2:3] offset:240
	global_load_dwordx4 v[116:119], v6, s[2:3] offset:224
	;; [unrolled: 1-line block ×4, first 2 shown]
	s_waitcnt lgkmcnt(5)
	v_mul_f64 v[2:3], v[200:201], v[98:99]
	s_waitcnt vmcnt(0) lgkmcnt(0)
	s_barrier
	buffer_gl0_inv
	v_add_f64 v[12:13], v[12:13], v[162:163]
	v_fma_f64 v[174:175], v[198:199], v[96:97], -v[2:3]
	v_mul_f64 v[2:3], v[198:199], v[98:99]
	v_add_f64 v[10:11], v[10:11], v[174:175]
	v_fma_f64 v[170:171], v[200:201], v[96:97], v[2:3]
	v_mul_f64 v[2:3], v[204:205], v[90:91]
	v_add_f64 v[12:13], v[12:13], v[170:171]
	v_fma_f64 v[182:183], v[202:203], v[88:89], -v[2:3]
	v_mul_f64 v[2:3], v[202:203], v[90:91]
	v_add_f64 v[10:11], v[10:11], v[182:183]
	v_fma_f64 v[178:179], v[204:205], v[88:89], v[2:3]
	v_add_f64 v[12:13], v[12:13], v[178:179]
	v_mul_f64 v[8:9], v[132:133], v[102:103]
	v_mul_f64 v[6:7], v[146:147], v[122:123]
	;; [unrolled: 1-line block ×3, first 2 shown]
	v_fma_f64 v[8:9], v[134:135], v[100:101], v[8:9]
	v_fma_f64 v[188:189], v[148:149], v[128:129], -v[2:3]
	v_mul_f64 v[2:3], v[148:149], v[130:131]
	v_fma_f64 v[148:149], v[144:145], v[120:121], -v[6:7]
	v_mul_f64 v[6:7], v[144:145], v[122:123]
	v_add_f64 v[10:11], v[10:11], v[188:189]
	v_fma_f64 v[2:3], v[150:151], v[128:129], v[2:3]
	v_fma_f64 v[144:145], v[146:147], v[120:121], v[6:7]
	v_mul_f64 v[6:7], v[142:143], v[118:119]
	v_add_f64 v[10:11], v[10:11], v[148:149]
	v_add_f64 v[12:13], v[12:13], v[2:3]
	v_fma_f64 v[146:147], v[140:141], v[116:117], -v[6:7]
	v_mul_f64 v[6:7], v[140:141], v[118:119]
	v_add_f64 v[12:13], v[12:13], v[144:145]
	v_add_f64 v[10:11], v[10:11], v[146:147]
	v_fma_f64 v[140:141], v[142:143], v[116:117], v[6:7]
	v_mul_f64 v[6:7], v[134:135], v[102:103]
	v_add_f64 v[142:143], v[196:197], v[8:9]
	v_add_f64 v[12:13], v[12:13], v[140:141]
	v_fma_f64 v[6:7], v[132:133], v[100:101], -v[6:7]
	v_add_f64 v[134:135], v[12:13], v[8:9]
	v_add_f64 v[132:133], v[10:11], v[6:7]
	;; [unrolled: 1-line block ×3, first 2 shown]
	v_add_f64 v[4:5], v[4:5], -v[6:7]
	v_add_f64 v[6:7], v[196:197], -v[8:9]
	v_mul_f64 v[22:23], v[4:5], s[44:45]
	v_mul_f64 v[8:9], v[6:7], s[42:43]
	;; [unrolled: 1-line block ×9, first 2 shown]
	v_fma_f64 v[24:25], v[142:143], s[0:1], v[22:23]
	v_fma_f64 v[12:13], v[10:11], s[34:35], -v[8:9]
	v_fma_f64 v[8:9], v[10:11], s[34:35], v[8:9]
	v_fma_f64 v[22:23], v[142:143], s[0:1], -v[22:23]
	;; [unrolled: 2-line block ×5, first 2 shown]
	v_fma_f64 v[20:21], v[10:11], s[0:1], -v[18:19]
	v_fma_f64 v[18:19], v[10:11], s[0:1], v[18:19]
	v_fma_f64 v[210:211], v[10:11], s[8:9], -v[26:27]
	v_fma_f64 v[26:27], v[10:11], s[8:9], v[26:27]
	;; [unrolled: 2-line block ×4, first 2 shown]
	v_add_f64 v[24:25], v[138:139], v[24:25]
	v_add_f64 v[200:201], v[136:137], v[12:13]
	v_mul_f64 v[12:13], v[4:5], s[42:43]
	v_add_f64 v[196:197], v[136:137], v[8:9]
	v_add_f64 v[22:23], v[138:139], v[22:23]
	;; [unrolled: 1-line block ×16, first 2 shown]
	v_fma_f64 v[8:9], v[142:143], s[34:35], -v[12:13]
	v_fma_f64 v[14:15], v[142:143], s[34:35], v[12:13]
	v_add_f64 v[198:199], v[138:139], v[8:9]
	v_mul_f64 v[8:9], v[6:7], s[48:49]
	v_add_f64 v[150:151], v[138:139], v[14:15]
	v_fma_f64 v[12:13], v[10:11], s[24:25], -v[8:9]
	v_fma_f64 v[8:9], v[10:11], s[24:25], v[8:9]
	v_add_f64 v[202:203], v[136:137], v[12:13]
	v_mul_f64 v[12:13], v[4:5], s[48:49]
	v_add_f64 v[206:207], v[136:137], v[8:9]
	v_fma_f64 v[14:15], v[142:143], s[24:25], v[12:13]
	v_fma_f64 v[8:9], v[142:143], s[24:25], -v[12:13]
	v_add_f64 v[204:205], v[138:139], v[14:15]
	v_mul_f64 v[14:15], v[4:5], s[52:53]
	v_mul_f64 v[4:5], v[4:5], s[40:41]
	v_add_f64 v[208:209], v[138:139], v[8:9]
	v_mul_f64 v[8:9], v[6:7], s[52:53]
	v_mul_f64 v[6:7], v[6:7], s[40:41]
	v_fma_f64 v[16:17], v[142:143], s[14:15], v[14:15]
	v_fma_f64 v[14:15], v[142:143], s[14:15], -v[14:15]
	v_fma_f64 v[237:238], v[142:143], s[38:39], v[4:5]
	v_fma_f64 v[4:5], v[142:143], s[38:39], -v[4:5]
	v_fma_f64 v[12:13], v[10:11], s[14:15], -v[8:9]
	v_fma_f64 v[8:9], v[10:11], s[14:15], v[8:9]
	v_fma_f64 v[235:236], v[10:11], s[38:39], -v[6:7]
	v_fma_f64 v[6:7], v[10:11], s[38:39], v[6:7]
	v_add_f64 v[10:11], v[194:195], v[146:147]
	v_add_f64 v[16:17], v[138:139], v[16:17]
	;; [unrolled: 1-line block ×5, first 2 shown]
	v_add_f64 v[138:139], v[194:195], -v[146:147]
	v_add_f64 v[12:13], v[136:137], v[12:13]
	v_add_f64 v[8:9], v[136:137], v[8:9]
	;; [unrolled: 1-line block ×5, first 2 shown]
	v_add_f64 v[140:141], v[192:193], -v[140:141]
	v_mul_f64 v[192:193], v[138:139], s[48:49]
	v_mul_f64 v[142:143], v[140:141], s[48:49]
	v_fma_f64 v[194:195], v[136:137], s[24:25], v[192:193]
	v_fma_f64 v[192:193], v[136:137], s[24:25], -v[192:193]
	v_fma_f64 v[146:147], v[10:11], s[24:25], -v[142:143]
	v_fma_f64 v[142:143], v[10:11], s[24:25], v[142:143]
	v_add_f64 v[150:151], v[194:195], v[150:151]
	v_mul_f64 v[194:195], v[140:141], s[44:45]
	v_add_f64 v[192:193], v[192:193], v[198:199]
	v_mul_f64 v[198:199], v[138:139], s[44:45]
	v_add_f64 v[146:147], v[146:147], v[200:201]
	v_add_f64 v[142:143], v[142:143], v[196:197]
	v_fma_f64 v[196:197], v[10:11], s[0:1], -v[194:195]
	v_fma_f64 v[194:195], v[10:11], s[0:1], v[194:195]
	v_fma_f64 v[200:201], v[136:137], s[0:1], v[198:199]
	v_fma_f64 v[198:199], v[136:137], s[0:1], -v[198:199]
	v_add_f64 v[196:197], v[196:197], v[202:203]
	v_mul_f64 v[202:203], v[140:141], s[22:23]
	v_add_f64 v[200:201], v[200:201], v[204:205]
	v_add_f64 v[194:195], v[194:195], v[206:207]
	;; [unrolled: 1-line block ×3, first 2 shown]
	v_fma_f64 v[204:205], v[10:11], s[18:19], -v[202:203]
	v_fma_f64 v[202:203], v[10:11], s[18:19], v[202:203]
	v_add_f64 v[12:13], v[204:205], v[12:13]
	v_mul_f64 v[204:205], v[138:139], s[22:23]
	v_add_f64 v[8:9], v[202:203], v[8:9]
	v_fma_f64 v[202:203], v[136:137], s[18:19], -v[204:205]
	v_fma_f64 v[206:207], v[136:137], s[18:19], v[204:205]
	v_add_f64 v[14:15], v[202:203], v[14:15]
	v_mul_f64 v[202:203], v[140:141], s[40:41]
	v_add_f64 v[16:17], v[206:207], v[16:17]
	;; [unrolled: 5-line block ×4, first 2 shown]
	v_mul_f64 v[206:207], v[138:139], s[54:55]
	v_fma_f64 v[204:205], v[10:11], s[26:27], -v[202:203]
	v_fma_f64 v[202:203], v[10:11], s[26:27], v[202:203]
	v_fma_f64 v[208:209], v[136:137], s[26:27], v[206:207]
	v_add_f64 v[204:205], v[204:205], v[210:211]
	v_add_f64 v[26:27], v[202:203], v[26:27]
	v_fma_f64 v[202:203], v[136:137], s[26:27], -v[206:207]
	v_mul_f64 v[206:207], v[140:141], s[50:51]
	v_add_f64 v[208:209], v[208:209], v[214:215]
	v_add_f64 v[202:203], v[202:203], v[212:213]
	v_fma_f64 v[210:211], v[10:11], s[8:9], -v[206:207]
	v_fma_f64 v[206:207], v[10:11], s[8:9], v[206:207]
	v_mul_f64 v[212:213], v[138:139], s[50:51]
	v_add_f64 v[210:211], v[210:211], v[218:219]
	v_add_f64 v[206:207], v[206:207], v[216:217]
	v_mul_f64 v[216:217], v[140:141], s[20:21]
	v_fma_f64 v[214:215], v[136:137], s[8:9], v[212:213]
	v_fma_f64 v[212:213], v[136:137], s[8:9], -v[212:213]
	v_mul_f64 v[140:141], v[140:141], s[36:37]
	v_fma_f64 v[218:219], v[10:11], s[14:15], -v[216:217]
	v_fma_f64 v[216:217], v[10:11], s[14:15], v[216:217]
	v_add_f64 v[212:213], v[212:213], v[220:221]
	v_mul_f64 v[220:221], v[138:139], s[20:21]
	v_mul_f64 v[138:139], v[138:139], s[36:37]
	v_add_f64 v[214:215], v[214:215], v[222:223]
	v_add_f64 v[218:219], v[218:219], v[226:227]
	v_add_f64 v[216:217], v[216:217], v[224:225]
	v_fma_f64 v[224:225], v[10:11], s[34:35], -v[140:141]
	v_fma_f64 v[10:11], v[10:11], s[34:35], v[140:141]
	v_add_f64 v[140:141], v[186:187], -v[144:145]
	v_fma_f64 v[222:223], v[136:137], s[14:15], v[220:221]
	v_fma_f64 v[220:221], v[136:137], s[14:15], -v[220:221]
	v_fma_f64 v[226:227], v[136:137], s[34:35], v[138:139]
	v_add_f64 v[224:225], v[224:225], v[235:236]
	v_add_f64 v[6:7], v[10:11], v[6:7]
	v_fma_f64 v[10:11], v[136:137], s[34:35], -v[138:139]
	v_add_f64 v[136:137], v[186:187], v[144:145]
	v_mul_f64 v[144:145], v[140:141], s[52:53]
	v_add_f64 v[138:139], v[190:191], -v[148:149]
	v_add_f64 v[220:221], v[220:221], v[228:229]
	v_add_f64 v[222:223], v[222:223], v[230:231]
	v_add_f64 v[230:231], v[184:185], -v[2:3]
	v_add_f64 v[228:229], v[0:1], -v[188:189]
	v_add_f64 v[226:227], v[226:227], v[237:238]
	v_add_f64 v[4:5], v[10:11], v[4:5]
	;; [unrolled: 1-line block ×3, first 2 shown]
	v_mul_f64 v[190:191], v[138:139], s[22:23]
	v_fma_f64 v[148:149], v[10:11], s[14:15], -v[144:145]
	v_fma_f64 v[144:145], v[10:11], s[14:15], v[144:145]
	v_add_f64 v[146:147], v[148:149], v[146:147]
	v_mul_f64 v[148:149], v[138:139], s[52:53]
	v_add_f64 v[142:143], v[144:145], v[142:143]
	v_fma_f64 v[186:187], v[136:137], s[14:15], v[148:149]
	v_fma_f64 v[144:145], v[136:137], s[14:15], -v[148:149]
	v_mul_f64 v[148:149], v[140:141], s[22:23]
	v_add_f64 v[150:151], v[186:187], v[150:151]
	v_add_f64 v[144:145], v[144:145], v[192:193]
	v_fma_f64 v[186:187], v[10:11], s[18:19], -v[148:149]
	v_fma_f64 v[148:149], v[10:11], s[18:19], v[148:149]
	v_fma_f64 v[192:193], v[136:137], s[18:19], v[190:191]
	v_fma_f64 v[190:191], v[136:137], s[18:19], -v[190:191]
	v_add_f64 v[186:187], v[186:187], v[196:197]
	v_add_f64 v[148:149], v[148:149], v[194:195]
	v_mul_f64 v[194:195], v[140:141], s[56:57]
	v_add_f64 v[190:191], v[190:191], v[198:199]
	v_add_f64 v[192:193], v[192:193], v[200:201]
	v_fma_f64 v[196:197], v[10:11], s[38:39], -v[194:195]
	v_fma_f64 v[194:195], v[10:11], s[38:39], v[194:195]
	v_add_f64 v[12:13], v[196:197], v[12:13]
	v_mul_f64 v[196:197], v[138:139], s[56:57]
	v_add_f64 v[8:9], v[194:195], v[8:9]
	v_fma_f64 v[194:195], v[136:137], s[38:39], -v[196:197]
	v_fma_f64 v[198:199], v[136:137], s[38:39], v[196:197]
	v_add_f64 v[14:15], v[194:195], v[14:15]
	v_mul_f64 v[194:195], v[140:141], s[50:51]
	;; [unrolled: 5-line block ×4, first 2 shown]
	v_add_f64 v[24:25], v[198:199], v[24:25]
	v_mul_f64 v[198:199], v[138:139], s[30:31]
	v_fma_f64 v[196:197], v[10:11], s[24:25], -v[194:195]
	v_fma_f64 v[194:195], v[10:11], s[24:25], v[194:195]
	v_fma_f64 v[200:201], v[136:137], s[24:25], v[198:199]
	v_add_f64 v[196:197], v[196:197], v[204:205]
	v_add_f64 v[26:27], v[194:195], v[26:27]
	v_fma_f64 v[194:195], v[136:137], s[24:25], -v[198:199]
	v_add_f64 v[200:201], v[200:201], v[208:209]
	v_add_f64 v[202:203], v[194:195], v[202:203]
	v_mul_f64 v[194:195], v[140:141], s[42:43]
	v_fma_f64 v[198:199], v[10:11], s[34:35], -v[194:195]
	v_fma_f64 v[194:195], v[10:11], s[34:35], v[194:195]
	v_add_f64 v[204:205], v[198:199], v[210:211]
	v_mul_f64 v[198:199], v[138:139], s[42:43]
	v_add_f64 v[206:207], v[194:195], v[206:207]
	v_fma_f64 v[194:195], v[136:137], s[34:35], -v[198:199]
	v_fma_f64 v[208:209], v[136:137], s[34:35], v[198:199]
	v_add_f64 v[210:211], v[194:195], v[212:213]
	v_mul_f64 v[194:195], v[140:141], s[44:45]
	v_mul_f64 v[140:141], v[140:141], s[28:29]
	v_add_f64 v[208:209], v[208:209], v[214:215]
	v_fma_f64 v[198:199], v[10:11], s[0:1], -v[194:195]
	v_fma_f64 v[194:195], v[10:11], s[0:1], v[194:195]
	v_add_f64 v[212:213], v[198:199], v[218:219]
	v_mul_f64 v[198:199], v[138:139], s[44:45]
	v_add_f64 v[216:217], v[194:195], v[216:217]
	v_mul_f64 v[138:139], v[138:139], s[28:29]
	v_fma_f64 v[194:195], v[136:137], s[0:1], -v[198:199]
	v_fma_f64 v[214:215], v[136:137], s[0:1], v[198:199]
	v_add_f64 v[218:219], v[194:195], v[220:221]
	v_fma_f64 v[194:195], v[10:11], s[26:27], -v[140:141]
	v_fma_f64 v[10:11], v[10:11], s[26:27], v[140:141]
	v_add_f64 v[214:215], v[214:215], v[222:223]
	v_add_f64 v[220:221], v[194:195], v[224:225]
	;; [unrolled: 1-line block ×3, first 2 shown]
	v_fma_f64 v[10:11], v[136:137], s[26:27], -v[138:139]
	v_add_f64 v[224:225], v[184:185], v[2:3]
	v_mul_f64 v[2:3], v[230:231], s[44:45]
	v_fma_f64 v[194:195], v[136:137], s[26:27], v[138:139]
	v_mul_f64 v[136:137], v[228:229], s[44:45]
	v_add_f64 v[4:5], v[10:11], v[4:5]
	v_add_f64 v[10:11], v[0:1], v[188:189]
	;; [unrolled: 1-line block ×3, first 2 shown]
	v_fma_f64 v[0:1], v[10:11], s[0:1], -v[2:3]
	v_fma_f64 v[2:3], v[10:11], s[0:1], v[2:3]
	v_add_f64 v[226:227], v[0:1], v[146:147]
	v_fma_f64 v[0:1], v[224:225], s[0:1], v[136:137]
	v_add_f64 v[2:3], v[2:3], v[142:143]
	v_mul_f64 v[142:143], v[230:231], s[40:41]
	v_fma_f64 v[136:137], v[224:225], s[0:1], -v[136:137]
	v_add_f64 v[0:1], v[0:1], v[150:151]
	v_mul_f64 v[150:151], v[230:231], s[50:51]
	v_fma_f64 v[138:139], v[10:11], s[38:39], -v[142:143]
	v_fma_f64 v[142:143], v[10:11], s[38:39], v[142:143]
	v_add_f64 v[136:137], v[136:137], v[144:145]
	v_mul_f64 v[144:145], v[228:229], s[40:41]
	v_fma_f64 v[146:147], v[10:11], s[8:9], -v[150:151]
	v_add_f64 v[138:139], v[138:139], v[186:187]
	v_add_f64 v[142:143], v[142:143], v[148:149]
	v_fma_f64 v[140:141], v[224:225], s[38:39], v[144:145]
	v_fma_f64 v[144:145], v[224:225], s[38:39], -v[144:145]
	v_add_f64 v[146:147], v[146:147], v[12:13]
	v_mul_f64 v[12:13], v[228:229], s[50:51]
	v_add_f64 v[140:141], v[140:141], v[192:193]
	v_add_f64 v[144:145], v[144:145], v[190:191]
	v_fma_f64 v[148:149], v[224:225], s[8:9], v[12:13]
	v_add_f64 v[148:149], v[148:149], v[16:17]
	v_fma_f64 v[16:17], v[10:11], s[8:9], v[150:151]
	v_add_f64 v[150:151], v[16:17], v[8:9]
	v_fma_f64 v[8:9], v[224:225], s[8:9], -v[12:13]
	v_add_f64 v[184:185], v[8:9], v[14:15]
	v_mul_f64 v[8:9], v[230:231], s[36:37]
	v_fma_f64 v[12:13], v[10:11], s[34:35], -v[8:9]
	v_fma_f64 v[8:9], v[10:11], s[34:35], v[8:9]
	v_add_f64 v[186:187], v[12:13], v[20:21]
	v_mul_f64 v[12:13], v[228:229], s[36:37]
	v_add_f64 v[190:191], v[8:9], v[18:19]
	v_fma_f64 v[8:9], v[224:225], s[34:35], -v[12:13]
	v_fma_f64 v[14:15], v[224:225], s[34:35], v[12:13]
	v_add_f64 v[192:193], v[8:9], v[22:23]
	v_mul_f64 v[8:9], v[230:231], s[52:53]
	v_add_f64 v[188:189], v[14:15], v[24:25]
	v_fma_f64 v[12:13], v[10:11], s[14:15], -v[8:9]
	v_fma_f64 v[8:9], v[10:11], s[14:15], v[8:9]
	v_add_f64 v[194:195], v[12:13], v[196:197]
	v_mul_f64 v[12:13], v[228:229], s[52:53]
	v_add_f64 v[198:199], v[8:9], v[26:27]
	v_fma_f64 v[14:15], v[224:225], s[14:15], v[12:13]
	v_fma_f64 v[8:9], v[224:225], s[14:15], -v[12:13]
	v_add_f64 v[196:197], v[14:15], v[200:201]
	v_add_f64 v[200:201], v[8:9], v[202:203]
	v_mul_f64 v[8:9], v[230:231], s[28:29]
	v_fma_f64 v[12:13], v[10:11], s[26:27], -v[8:9]
	v_fma_f64 v[8:9], v[10:11], s[26:27], v[8:9]
	v_add_f64 v[202:203], v[12:13], v[204:205]
	v_mul_f64 v[12:13], v[228:229], s[28:29]
	v_add_f64 v[206:207], v[8:9], v[206:207]
	v_fma_f64 v[14:15], v[224:225], s[26:27], v[12:13]
	v_fma_f64 v[8:9], v[224:225], s[26:27], -v[12:13]
	v_add_f64 v[204:205], v[14:15], v[208:209]
	v_add_f64 v[208:209], v[8:9], v[210:211]
	v_mul_f64 v[8:9], v[230:231], s[46:47]
	v_fma_f64 v[12:13], v[10:11], s[18:19], -v[8:9]
	v_fma_f64 v[8:9], v[10:11], s[18:19], v[8:9]
	v_add_f64 v[210:211], v[12:13], v[212:213]
	v_mul_f64 v[12:13], v[228:229], s[46:47]
	v_fma_f64 v[14:15], v[224:225], s[18:19], v[12:13]
	v_add_f64 v[212:213], v[14:15], v[214:215]
	v_add_f64 v[214:215], v[8:9], v[216:217]
	v_fma_f64 v[8:9], v[224:225], s[18:19], -v[12:13]
	v_add_f64 v[216:217], v[8:9], v[218:219]
	v_mul_f64 v[8:9], v[230:231], s[30:31]
	v_add_f64 v[230:231], v[180:181], v[182:183]
	v_add_f64 v[180:181], v[180:181], -v[182:183]
	v_fma_f64 v[12:13], v[10:11], s[24:25], -v[8:9]
	v_fma_f64 v[8:9], v[10:11], s[24:25], v[8:9]
	v_mul_f64 v[10:11], v[180:181], s[10:11]
	v_mul_f64 v[22:23], v[180:181], s[30:31]
	v_add_f64 v[218:219], v[12:13], v[220:221]
	v_mul_f64 v[12:13], v[228:229], s[30:31]
	v_add_f64 v[228:229], v[176:177], v[178:179]
	v_fma_f64 v[14:15], v[224:225], s[24:25], v[12:13]
	v_fma_f64 v[24:25], v[228:229], s[24:25], v[22:23]
	v_fma_f64 v[22:23], v[228:229], s[24:25], -v[22:23]
	v_add_f64 v[220:221], v[14:15], v[222:223]
	v_add_f64 v[222:223], v[8:9], v[6:7]
	v_fma_f64 v[6:7], v[224:225], s[24:25], -v[12:13]
	v_fma_f64 v[12:13], v[228:229], s[8:9], v[10:11]
	v_mul_f64 v[14:15], v[180:181], s[54:55]
	v_add_f64 v[24:25], v[24:25], v[148:149]
	v_add_f64 v[22:23], v[22:23], v[184:185]
	;; [unrolled: 1-line block ×3, first 2 shown]
	v_add_f64 v[4:5], v[176:177], -v[178:179]
	v_add_f64 v[0:1], v[12:13], v[0:1]
	v_fma_f64 v[16:17], v[228:229], s[26:27], v[14:15]
	v_fma_f64 v[14:15], v[228:229], s[26:27], -v[14:15]
	v_mul_f64 v[178:179], v[180:181], s[16:17]
	v_mul_f64 v[6:7], v[4:5], s[10:11]
	;; [unrolled: 1-line block ×4, first 2 shown]
	v_add_f64 v[14:15], v[14:15], v[144:145]
	v_add_f64 v[16:17], v[16:17], v[140:141]
	v_mul_f64 v[184:185], v[4:5], s[42:43]
	v_fma_f64 v[182:183], v[228:229], s[0:1], v[178:179]
	v_fma_f64 v[178:179], v[228:229], s[0:1], -v[178:179]
	v_fma_f64 v[8:9], v[230:231], s[8:9], -v[6:7]
	v_fma_f64 v[6:7], v[230:231], s[8:9], v[6:7]
	v_fma_f64 v[20:21], v[230:231], s[24:25], -v[18:19]
	v_fma_f64 v[18:19], v[230:231], s[24:25], v[18:19]
	v_add_f64 v[182:183], v[182:183], v[204:205]
	v_add_f64 v[178:179], v[178:179], v[208:209]
	v_add_f64 v[8:9], v[8:9], v[226:227]
	v_add_f64 v[2:3], v[6:7], v[2:3]
	v_fma_f64 v[6:7], v[228:229], s[8:9], -v[10:11]
	v_mul_f64 v[10:11], v[4:5], s[54:55]
	v_add_f64 v[20:21], v[20:21], v[146:147]
	v_mul_f64 v[146:147], v[180:181], s[40:41]
	v_add_f64 v[18:19], v[18:19], v[150:151]
	;; [unrolled: 2-line block ×3, first 2 shown]
	v_add_f64 v[164:165], v[164:165], -v[166:167]
	v_add_f64 v[6:7], v[6:7], v[136:137]
	v_fma_f64 v[12:13], v[230:231], s[26:27], -v[10:11]
	v_fma_f64 v[10:11], v[230:231], s[26:27], v[10:11]
	v_fma_f64 v[148:149], v[228:229], s[38:39], v[146:147]
	v_fma_f64 v[146:147], v[228:229], s[38:39], -v[146:147]
	v_fma_f64 v[136:137], v[230:231], s[14:15], -v[26:27]
	v_fma_f64 v[26:27], v[230:231], s[14:15], v[26:27]
	v_fma_f64 v[176:177], v[230:231], s[0:1], -v[150:151]
	v_fma_f64 v[150:151], v[230:231], s[0:1], v[150:151]
	v_add_f64 v[12:13], v[12:13], v[138:139]
	v_add_f64 v[10:11], v[10:11], v[142:143]
	v_mul_f64 v[142:143], v[4:5], s[40:41]
	v_add_f64 v[148:149], v[148:149], v[196:197]
	v_add_f64 v[196:197], v[172:173], v[174:175]
	v_add_f64 v[172:173], v[172:173], -v[174:175]
	v_add_f64 v[146:147], v[146:147], v[200:201]
	v_add_f64 v[136:137], v[136:137], v[186:187]
	v_mul_f64 v[138:139], v[180:181], s[52:53]
	v_add_f64 v[26:27], v[26:27], v[190:191]
	v_fma_f64 v[186:187], v[230:231], s[34:35], -v[184:185]
	v_fma_f64 v[184:185], v[230:231], s[34:35], v[184:185]
	v_add_f64 v[176:177], v[176:177], v[202:203]
	v_add_f64 v[150:151], v[150:151], v[206:207]
	v_mul_f64 v[4:5], v[4:5], s[22:23]
	v_fma_f64 v[144:145], v[230:231], s[38:39], -v[142:143]
	v_fma_f64 v[142:143], v[230:231], s[38:39], v[142:143]
	v_fma_f64 v[140:141], v[228:229], s[14:15], v[138:139]
	v_fma_f64 v[138:139], v[228:229], s[14:15], -v[138:139]
	v_add_f64 v[186:187], v[186:187], v[210:211]
	v_add_f64 v[184:185], v[184:185], v[214:215]
	;; [unrolled: 1-line block ×5, first 2 shown]
	v_add_f64 v[168:169], v[168:169], -v[170:171]
	v_add_f64 v[140:141], v[140:141], v[188:189]
	v_add_f64 v[138:139], v[138:139], v[192:193]
	v_mul_f64 v[188:189], v[180:181], s[42:43]
	v_fma_f64 v[192:193], v[230:231], s[18:19], -v[4:5]
	v_mul_f64 v[180:181], v[180:181], s[22:23]
	v_fma_f64 v[4:5], v[230:231], s[18:19], v[4:5]
	v_mul_f64 v[170:171], v[168:169], s[22:23]
	v_fma_f64 v[190:191], v[228:229], s[34:35], v[188:189]
	v_fma_f64 v[188:189], v[228:229], s[34:35], -v[188:189]
	v_add_f64 v[192:193], v[192:193], v[218:219]
	v_fma_f64 v[194:195], v[228:229], s[18:19], v[180:181]
	v_add_f64 v[4:5], v[4:5], v[222:223]
	v_fma_f64 v[180:181], v[228:229], s[18:19], -v[180:181]
	v_add_f64 v[228:229], v[160:161], v[162:163]
	v_add_f64 v[160:161], v[160:161], -v[162:163]
	v_add_f64 v[162:163], v[156:157], v[158:159]
	v_fma_f64 v[174:175], v[196:197], s[18:19], -v[170:171]
	v_fma_f64 v[170:171], v[196:197], s[18:19], v[170:171]
	v_add_f64 v[190:191], v[190:191], v[212:213]
	v_add_f64 v[188:189], v[188:189], v[216:217]
	;; [unrolled: 1-line block ×5, first 2 shown]
	v_mul_f64 v[174:175], v[172:173], s[22:23]
	v_add_f64 v[2:3], v[170:171], v[2:3]
	v_fma_f64 v[170:171], v[198:199], s[18:19], -v[174:175]
	v_fma_f64 v[200:201], v[198:199], s[18:19], v[174:175]
	v_add_f64 v[6:7], v[170:171], v[6:7]
	v_mul_f64 v[170:171], v[168:169], s[50:51]
	v_add_f64 v[0:1], v[200:201], v[0:1]
	v_fma_f64 v[174:175], v[196:197], s[8:9], -v[170:171]
	v_fma_f64 v[170:171], v[196:197], s[8:9], v[170:171]
	v_add_f64 v[12:13], v[174:175], v[12:13]
	;; [unrolled: 5-line block ×5, first 2 shown]
	v_mul_f64 v[170:171], v[168:169], s[28:29]
	v_add_f64 v[24:25], v[200:201], v[24:25]
	v_fma_f64 v[174:175], v[196:197], s[26:27], -v[170:171]
	v_add_f64 v[136:137], v[174:175], v[136:137]
	v_mul_f64 v[174:175], v[172:173], s[28:29]
	v_fma_f64 v[200:201], v[198:199], s[26:27], v[174:175]
	v_add_f64 v[200:201], v[200:201], v[140:141]
	v_fma_f64 v[140:141], v[196:197], s[26:27], v[170:171]
	v_add_f64 v[26:27], v[140:141], v[26:27]
	v_fma_f64 v[140:141], v[198:199], s[26:27], -v[174:175]
	v_add_f64 v[138:139], v[140:141], v[138:139]
	v_mul_f64 v[140:141], v[168:169], s[16:17]
	v_fma_f64 v[170:171], v[196:197], s[0:1], -v[140:141]
	v_fma_f64 v[140:141], v[196:197], s[0:1], v[140:141]
	v_add_f64 v[170:171], v[170:171], v[144:145]
	v_mul_f64 v[144:145], v[172:173], s[16:17]
	v_add_f64 v[212:213], v[140:141], v[142:143]
	v_fma_f64 v[140:141], v[198:199], s[0:1], -v[144:145]
	v_fma_f64 v[174:175], v[198:199], s[0:1], v[144:145]
	v_add_f64 v[214:215], v[140:141], v[146:147]
	v_mul_f64 v[140:141], v[168:169], s[48:49]
	v_add_f64 v[174:175], v[174:175], v[148:149]
	v_fma_f64 v[142:143], v[196:197], s[24:25], -v[140:141]
	v_fma_f64 v[140:141], v[196:197], s[24:25], v[140:141]
	v_add_f64 v[176:177], v[142:143], v[176:177]
	v_mul_f64 v[142:143], v[172:173], s[48:49]
	v_add_f64 v[216:217], v[140:141], v[150:151]
	v_fma_f64 v[140:141], v[198:199], s[24:25], -v[142:143]
	v_fma_f64 v[144:145], v[198:199], s[24:25], v[142:143]
	v_add_f64 v[178:179], v[140:141], v[178:179]
	v_mul_f64 v[140:141], v[168:169], s[40:41]
	v_add_f64 v[182:183], v[144:145], v[182:183]
	v_fma_f64 v[142:143], v[196:197], s[38:39], -v[140:141]
	v_fma_f64 v[140:141], v[196:197], s[38:39], v[140:141]
	v_add_f64 v[218:219], v[142:143], v[186:187]
	v_mul_f64 v[142:143], v[172:173], s[40:41]
	v_add_f64 v[222:223], v[140:141], v[184:185]
	v_fma_f64 v[140:141], v[198:199], s[38:39], -v[142:143]
	v_fma_f64 v[144:145], v[198:199], s[38:39], v[142:143]
	v_add_f64 v[224:225], v[140:141], v[188:189]
	v_mul_f64 v[140:141], v[168:169], s[20:21]
	v_add_f64 v[220:221], v[144:145], v[190:191]
	v_fma_f64 v[142:143], v[196:197], s[14:15], -v[140:141]
	v_fma_f64 v[140:141], v[196:197], s[14:15], v[140:141]
	v_add_f64 v[168:169], v[142:143], v[192:193]
	v_mul_f64 v[142:143], v[172:173], s[20:21]
	v_add_f64 v[4:5], v[140:141], v[4:5]
	v_fma_f64 v[144:145], v[198:199], s[14:15], v[142:143]
	v_fma_f64 v[140:141], v[198:199], s[14:15], -v[142:143]
	v_add_f64 v[192:193], v[144:145], v[194:195]
	v_add_f64 v[194:195], v[140:141], v[180:181]
	v_mul_f64 v[140:141], v[160:161], s[28:29]
	v_fma_f64 v[142:143], v[226:227], s[26:27], -v[140:141]
	v_add_f64 v[8:9], v[142:143], v[8:9]
	v_mul_f64 v[142:143], v[164:165], s[28:29]
	v_fma_f64 v[144:145], v[228:229], s[26:27], v[142:143]
	v_add_f64 v[230:231], v[144:145], v[0:1]
	v_fma_f64 v[0:1], v[226:227], s[26:27], v[140:141]
	v_add_f64 v[235:236], v[0:1], v[2:3]
	v_fma_f64 v[0:1], v[228:229], s[26:27], -v[142:143]
	v_add_f64 v[6:7], v[0:1], v[6:7]
	v_mul_f64 v[0:1], v[160:161], s[20:21]
	v_fma_f64 v[2:3], v[226:227], s[14:15], -v[0:1]
	v_fma_f64 v[0:1], v[226:227], s[14:15], v[0:1]
	v_add_f64 v[140:141], v[2:3], v[12:13]
	v_mul_f64 v[2:3], v[164:165], s[20:21]
	v_add_f64 v[144:145], v[0:1], v[10:11]
	v_fma_f64 v[0:1], v[228:229], s[14:15], -v[2:3]
	v_fma_f64 v[12:13], v[228:229], s[14:15], v[2:3]
	v_add_f64 v[146:147], v[0:1], v[14:15]
	v_mul_f64 v[0:1], v[160:161], s[44:45]
	v_add_f64 v[142:143], v[12:13], v[16:17]
	;; [unrolled: 5-line block ×10, first 2 shown]
	v_add_f64 v[182:183], v[152:153], -v[154:155]
	v_fma_f64 v[2:3], v[226:227], s[24:25], -v[0:1]
	v_fma_f64 v[0:1], v[226:227], s[24:25], v[0:1]
	v_add_f64 v[176:177], v[2:3], v[218:219]
	v_mul_f64 v[2:3], v[164:165], s[30:31]
	v_add_f64 v[172:173], v[0:1], v[222:223]
	v_fma_f64 v[0:1], v[228:229], s[24:25], -v[2:3]
	v_fma_f64 v[10:11], v[228:229], s[24:25], v[2:3]
	v_add_f64 v[170:171], v[0:1], v[224:225]
	v_mul_f64 v[0:1], v[160:161], s[10:11]
	v_add_f64 v[174:175], v[10:11], v[220:221]
                                        ; implicit-def: $vgpr220_vgpr221
	v_fma_f64 v[2:3], v[226:227], s[8:9], -v[0:1]
	v_fma_f64 v[0:1], v[226:227], s[8:9], v[0:1]
	v_add_f64 v[166:167], v[2:3], v[168:169]
	v_mul_f64 v[2:3], v[164:165], s[10:11]
	v_add_f64 v[160:161], v[0:1], v[4:5]
	v_mul_f64 v[4:5], v[182:183], s[40:41]
	v_add_f64 v[168:169], v[156:157], -v[158:159]
	v_fma_f64 v[10:11], v[228:229], s[8:9], v[2:3]
	v_fma_f64 v[0:1], v[228:229], s[8:9], -v[2:3]
	v_add_f64 v[2:3], v[152:153], v[154:155]
	v_add_f64 v[164:165], v[10:11], v[192:193]
	v_fma_f64 v[10:11], v[162:163], s[38:39], -v[4:5]
	v_fma_f64 v[4:5], v[162:163], s[38:39], v[4:5]
	v_add_f64 v[0:1], v[0:1], v[194:195]
	v_add_f64 v[136:137], v[10:11], v[8:9]
	v_mul_f64 v[8:9], v[168:169], s[40:41]
	v_add_f64 v[192:193], v[4:5], v[235:236]
	v_fma_f64 v[4:5], v[2:3], s[38:39], -v[8:9]
	v_fma_f64 v[10:11], v[2:3], s[38:39], v[8:9]
	v_add_f64 v[194:195], v[4:5], v[6:7]
	v_mul_f64 v[4:5], v[182:183], s[36:37]
	v_add_f64 v[138:139], v[10:11], v[230:231]
	v_fma_f64 v[6:7], v[162:163], s[34:35], -v[4:5]
	v_fma_f64 v[4:5], v[162:163], s[34:35], v[4:5]
	;; [unrolled: 5-line block ×8, first 2 shown]
	v_add_f64 v[156:157], v[6:7], v[202:203]
	v_mul_f64 v[6:7], v[168:169], s[22:23]
	v_fma_f64 v[8:9], v[2:3], s[18:19], v[6:7]
	v_add_f64 v[158:159], v[8:9], v[200:201]
	v_add_f64 v[200:201], v[4:5], v[190:191]
	v_fma_f64 v[4:5], v[2:3], s[18:19], -v[6:7]
	v_add_f64 v[202:203], v[4:5], v[188:189]
	v_mul_f64 v[4:5], v[182:183], s[20:21]
	v_fma_f64 v[6:7], v[162:163], s[14:15], -v[4:5]
	v_fma_f64 v[4:5], v[162:163], s[14:15], v[4:5]
	v_add_f64 v[186:187], v[6:7], v[186:187]
	v_mul_f64 v[6:7], v[168:169], s[20:21]
	v_add_f64 v[208:209], v[4:5], v[180:181]
	v_fma_f64 v[4:5], v[2:3], s[14:15], -v[6:7]
	v_fma_f64 v[8:9], v[2:3], s[14:15], v[6:7]
	v_add_f64 v[210:211], v[4:5], v[178:179]
	v_mul_f64 v[4:5], v[182:183], s[10:11]
	v_add_f64 v[188:189], v[8:9], v[184:185]
	;; [unrolled: 5-line block ×3, first 2 shown]
	v_fma_f64 v[8:9], v[2:3], s[8:9], v[6:7]
	v_fma_f64 v[4:5], v[2:3], s[8:9], -v[6:7]
	v_add_f64 v[178:179], v[8:9], v[174:175]
	v_add_f64 v[174:175], v[4:5], v[170:171]
	v_mul_f64 v[4:5], v[182:183], s[16:17]
	v_fma_f64 v[6:7], v[162:163], s[0:1], -v[4:5]
	v_fma_f64 v[4:5], v[162:163], s[0:1], v[4:5]
	v_add_f64 v[166:167], v[6:7], v[166:167]
	v_mul_f64 v[6:7], v[168:169], s[16:17]
	v_add_f64 v[160:161], v[4:5], v[160:161]
	v_fma_f64 v[8:9], v[2:3], s[0:1], v[6:7]
	v_fma_f64 v[2:3], v[2:3], s[0:1], -v[6:7]
	v_add_f64 v[168:169], v[8:9], v[164:165]
	v_add_f64 v[162:163], v[2:3], v[0:1]
	v_mov_b32_e32 v0, 0x121
	v_mul_u32_u24_sdwa v0, v233, v0 dst_sel:DWORD dst_unused:UNUSED_PAD src0_sel:WORD_0 src1_sel:DWORD
	v_add_lshl_u32 v244, v0, v234, 4
	ds_write_b128 v244, v[132:135]
	ds_write_b128 v244, v[136:139] offset:272
	ds_write_b128 v244, v[140:143] offset:544
	;; [unrolled: 1-line block ×16, first 2 shown]
	s_waitcnt lgkmcnt(0)
	s_barrier
	buffer_gl0_inv
	ds_read_b128 v[212:215], v248
	ds_read_b128 v[148:151], v248 offset:4624
	ds_read_b128 v[168:171], v248 offset:9248
	;; [unrolled: 1-line block ×11, first 2 shown]
	s_and_saveexec_b32 s0, vcc_lo
	s_cbranch_execz .LBB0_3
; %bb.2:
	ds_read_b128 v[200:203], v248 offset:3264
	ds_read_b128 v[204:207], v248 offset:7888
	;; [unrolled: 1-line block ×6, first 2 shown]
.LBB0_3:
	s_or_b32 exec_lo, exec_lo, s0
	buffer_load_dword v34, off, s[60:63], 0 ; 4-byte Folded Reload
	s_waitcnt vmcnt(0)
	v_mad_u64_u32 v[0:1], null, 0x50, v34, s[2:3]
	v_add_co_u32 v2, s0, 0x1100, v0
	v_add_co_ci_u32_e64 v3, s0, 0, v1, s0
	s_clause 0x1
	global_load_dwordx4 v[132:135], v[2:3], off offset:32
	global_load_dwordx4 v[152:155], v[2:3], off offset:16
	s_waitcnt vmcnt(1) lgkmcnt(8)
	v_mul_f64 v[6:7], v[156:157], v[134:135]
	v_mul_f64 v[4:5], v[158:159], v[134:135]
	v_fma_f64 v[224:225], v[158:159], v[132:133], v[6:7]
	v_add_co_u32 v6, s0, 0x1000, v0
	v_add_co_ci_u32_e64 v7, s0, 0, v1, s0
	v_add_co_u32 v8, s0, 0x30e0, v0
	v_add_co_ci_u32_e64 v9, s0, 0, v1, s0
	v_fma_f64 v[4:5], v[156:157], v[132:133], -v[4:5]
	s_clause 0x1
	global_load_dwordx4 v[180:183], v[6:7], off offset:320
	global_load_dwordx4 v[156:159], v[8:9], off offset:16
	v_add_co_u32 v0, s0, 0x3000, v0
	v_add_co_ci_u32_e64 v1, s0, 0, v1, s0
	s_waitcnt vmcnt(1) lgkmcnt(6)
	v_mul_f64 v[10:11], v[160:161], v[182:183]
	v_mul_f64 v[12:13], v[162:163], v[182:183]
	v_fma_f64 v[10:11], v[162:163], v[180:181], v[10:11]
	v_fma_f64 v[12:13], v[160:161], v[180:181], -v[12:13]
	s_clause 0x1
	global_load_dwordx4 v[176:179], v[8:9], off offset:32
	global_load_dwordx4 v[160:163], v[8:9], off offset:48
	s_waitcnt vmcnt(1) lgkmcnt(2)
	v_mul_f64 v[8:9], v[166:167], v[178:179]
	v_fma_f64 v[14:15], v[164:165], v[176:177], -v[8:9]
	v_mul_f64 v[8:9], v[164:165], v[178:179]
	v_fma_f64 v[16:17], v[166:167], v[176:177], v[8:9]
	s_clause 0x1
	global_load_dwordx4 v[184:187], v[0:1], off offset:288
	global_load_dwordx4 v[164:167], v[0:1], off offset:224
	s_waitcnt vmcnt(1) lgkmcnt(0)
	v_mul_f64 v[0:1], v[172:173], v[186:187]
	v_fma_f64 v[18:19], v[174:175], v[184:185], v[0:1]
	v_mul_f64 v[0:1], v[174:175], v[186:187]
	v_fma_f64 v[20:21], v[172:173], v[184:185], -v[0:1]
	v_mul_f64 v[0:1], v[170:171], v[154:155]
	v_fma_f64 v[8:9], v[168:169], v[152:153], -v[0:1]
	v_mul_f64 v[0:1], v[168:169], v[154:155]
	v_fma_f64 v[22:23], v[170:171], v[152:153], v[0:1]
	s_clause 0x1
	global_load_dwordx4 v[172:175], v[2:3], off offset:48
	global_load_dwordx4 v[168:171], v[6:7], off offset:256
	s_waitcnt vmcnt(1)
	v_mul_f64 v[0:1], v[218:219], v[174:175]
	v_fma_f64 v[6:7], v[216:217], v[172:173], -v[0:1]
	v_mul_f64 v[0:1], v[216:217], v[174:175]
	v_fma_f64 v[24:25], v[218:219], v[172:173], v[0:1]
	s_waitcnt vmcnt(0)
	v_mul_f64 v[0:1], v[150:151], v[170:171]
	v_fma_f64 v[26:27], v[148:149], v[168:169], -v[0:1]
	v_mul_f64 v[0:1], v[148:149], v[170:171]
	v_fma_f64 v[238:239], v[150:151], v[168:169], v[0:1]
	v_mul_f64 v[0:1], v[190:191], v[166:167]
	v_fma_f64 v[242:243], v[188:189], v[164:165], -v[0:1]
	v_mul_f64 v[0:1], v[188:189], v[166:167]
	v_fma_f64 v[245:246], v[190:191], v[164:165], v[0:1]
	;; [unrolled: 4-line block ×4, first 2 shown]
	v_add_nc_u32_e32 v0, 0xcc, v34
	v_add_nc_u32_e32 v1, 0xffffffab, v34
	v_cndmask_b32_e32 v0, v1, v0, vcc_lo
	v_mul_i32_i24_e32 v1, 0x50, v0
	v_mul_hi_i32_i24_e32 v0, 0x50, v0
	v_add_co_u32 v36, s0, s2, v1
	v_add_co_ci_u32_e64 v37, s0, s3, v0, s0
	s_mov_b32 s3, 0xbfebb67a
	v_add_co_u32 v34, s0, 0x1100, v36
	v_add_co_ci_u32_e64 v35, s0, 0, v37, s0
	s_clause 0x1
	global_load_dwordx4 v[136:139], v[34:35], off offset:32
	global_load_dwordx4 v[140:143], v[34:35], off offset:16
	v_add_f64 v[38:39], v[28:29], v[32:33]
	v_fma_f64 v[38:39], v[38:39], -0.5, v[210:211]
	v_add_f64 v[210:211], v[210:211], v[28:29]
	v_add_f64 v[210:211], v[210:211], v[32:33]
	s_waitcnt vmcnt(1)
	v_mul_f64 v[0:1], v[146:147], v[138:139]
	v_fma_f64 v[2:3], v[144:145], v[136:137], -v[0:1]
	v_mul_f64 v[0:1], v[144:145], v[138:139]
	v_add_co_u32 v144, s0, 0x1000, v36
	v_add_co_ci_u32_e64 v145, s0, 0, v37, s0
	s_mov_b32 s0, 0xe8584caa
	s_mov_b32 s1, 0x3febb67a
	;; [unrolled: 1-line block ×3, first 2 shown]
	global_load_dwordx4 v[148:151], v[144:145], off offset:320
	v_fma_f64 v[218:219], v[146:147], v[136:137], v[0:1]
	s_waitcnt vmcnt(0)
	v_mul_f64 v[146:147], v[220:221], v[150:151]
	v_mul_f64 v[0:1], v[222:223], v[150:151]
	v_fma_f64 v[216:217], v[222:223], v[148:149], v[146:147]
	s_clause 0x1
	global_load_dwordx4 v[144:147], v[144:145], off offset:256
	global_load_dwordx4 v[188:191], v[34:35], off offset:48
	v_fma_f64 v[0:1], v[220:221], v[148:149], -v[0:1]
	s_waitcnt vmcnt(1)
	v_mul_f64 v[34:35], v[206:207], v[146:147]
	v_fma_f64 v[220:221], v[204:205], v[144:145], -v[34:35]
	v_mul_f64 v[34:35], v[204:205], v[146:147]
	v_fma_f64 v[206:207], v[206:207], v[144:145], v[34:35]
	v_mul_f64 v[34:35], v[198:199], v[142:143]
	v_fma_f64 v[204:205], v[196:197], v[140:141], -v[34:35]
	v_mul_f64 v[34:35], v[196:197], v[142:143]
	v_fma_f64 v[196:197], v[198:199], v[140:141], v[34:35]
	v_add_f64 v[34:35], v[8:9], v[6:7]
	v_add_f64 v[198:199], v[22:23], v[24:25]
	v_fma_f64 v[34:35], v[34:35], -0.5, v[212:213]
	v_add_f64 v[212:213], v[212:213], v[8:9]
	v_fma_f64 v[198:199], v[198:199], -0.5, v[214:215]
	v_add_f64 v[214:215], v[214:215], v[22:23]
	v_add_f64 v[22:23], v[22:23], -v[24:25]
	v_add_f64 v[222:223], v[212:213], v[6:7]
	v_add_f64 v[212:213], v[26:27], v[4:5]
	;; [unrolled: 1-line block ×3, first 2 shown]
	v_add_f64 v[6:7], v[8:9], -v[6:7]
	v_add_f64 v[226:227], v[212:213], v[12:13]
	v_add_f64 v[212:213], v[238:239], v[224:225]
	;; [unrolled: 1-line block ×4, first 2 shown]
	v_add_f64 v[226:227], v[222:223], -v[226:227]
	v_add_f64 v[222:223], v[254:255], v[30:31]
	v_add_f64 v[214:215], v[228:229], v[230:231]
	v_add_f64 v[228:229], v[228:229], -v[230:231]
	v_add_f64 v[230:231], v[245:246], v[16:17]
	v_fma_f64 v[36:37], v[222:223], -0.5, v[208:209]
	v_add_f64 v[208:209], v[208:209], v[254:255]
	v_add_f64 v[222:223], v[242:243], v[14:15]
	;; [unrolled: 1-line block ×6, first 2 shown]
	v_add_f64 v[236:237], v[210:211], -v[236:237]
	v_fma_f64 v[210:211], v[6:7], s[2:3], v[198:199]
	v_add_f64 v[230:231], v[208:209], v[222:223]
	v_add_f64 v[234:235], v[208:209], -v[222:223]
	v_add_f64 v[208:209], v[4:5], v[12:13]
	v_add_f64 v[4:5], v[4:5], -v[12:13]
	;; [unrolled: 2-line block ×3, first 2 shown]
	v_fma_f64 v[8:9], v[208:209], -0.5, v[26:27]
	v_fma_f64 v[12:13], v[12:13], -0.5, v[238:239]
	v_add_f64 v[238:239], v[2:3], -v[0:1]
	v_fma_f64 v[26:27], v[10:11], s[0:1], v[8:9]
	v_fma_f64 v[8:9], v[10:11], s[2:3], v[8:9]
	;; [unrolled: 1-line block ×6, first 2 shown]
	v_mul_f64 v[6:7], v[8:9], -0.5
	v_mul_f64 v[208:209], v[24:25], s[0:1]
	v_fma_f64 v[208:209], v[26:27], 0.5, v[208:209]
	v_mul_f64 v[26:27], v[26:27], s[2:3]
	v_fma_f64 v[24:25], v[24:25], 0.5, v[26:27]
	v_fma_f64 v[26:27], v[22:23], s[0:1], v[34:35]
	v_fma_f64 v[22:23], v[4:5], s[0:1], v[6:7]
	v_mul_f64 v[4:5], v[4:5], -0.5
	v_add_f64 v[224:225], v[210:211], v[24:25]
	v_add_f64 v[252:253], v[210:211], -v[24:25]
	v_add_f64 v[222:223], v[26:27], v[208:209]
	v_fma_f64 v[24:25], v[8:9], s[2:3], v[4:5]
	v_add_f64 v[4:5], v[10:11], v[22:23]
	v_add_f64 v[8:9], v[10:11], -v[22:23]
	v_add_f64 v[250:251], v[26:27], -v[208:209]
	;; [unrolled: 1-line block ×4, first 2 shown]
	v_add_f64 v[6:7], v[12:13], v[24:25]
	v_add_f64 v[10:11], v[12:13], -v[24:25]
	v_add_f64 v[12:13], v[14:15], v[20:21]
	v_add_f64 v[20:21], v[14:15], -v[20:21]
	v_add_f64 v[14:15], v[16:17], v[18:19]
	v_add_f64 v[24:25], v[16:17], -v[18:19]
	v_fma_f64 v[32:33], v[26:27], s[0:1], v[36:37]
	v_fma_f64 v[34:35], v[28:29], s[2:3], v[38:39]
	;; [unrolled: 1-line block ×4, first 2 shown]
	v_fma_f64 v[30:31], v[12:13], -0.5, v[242:243]
	v_fma_f64 v[22:23], v[14:15], -0.5, v[245:246]
	v_fma_f64 v[14:15], v[24:25], s[0:1], v[30:31]
	v_fma_f64 v[24:25], v[24:25], s[2:3], v[30:31]
	;; [unrolled: 1-line block ×4, first 2 shown]
	v_mul_f64 v[22:23], v[24:25], -0.5
	v_mul_f64 v[16:17], v[12:13], s[0:1]
	v_fma_f64 v[30:31], v[20:21], s[0:1], v[22:23]
	v_fma_f64 v[16:17], v[14:15], 0.5, v[16:17]
	v_mul_f64 v[14:15], v[14:15], s[2:3]
	v_mul_f64 v[20:21], v[20:21], -0.5
	v_fma_f64 v[18:19], v[12:13], 0.5, v[14:15]
	v_add_f64 v[12:13], v[32:33], v[16:17]
	v_add_f64 v[16:17], v[32:33], -v[16:17]
	v_fma_f64 v[32:33], v[24:25], s[2:3], v[20:21]
	v_add_f64 v[20:21], v[26:27], v[30:31]
	v_add_f64 v[24:25], v[26:27], -v[30:31]
	v_add_f64 v[14:15], v[34:35], v[18:19]
	v_add_f64 v[18:19], v[34:35], -v[18:19]
	;; [unrolled: 2-line block ×3, first 2 shown]
	ds_write_b128 v248, v[212:215]
	ds_write_b128 v248, v[226:229] offset:13872
	ds_write_b128 v248, v[230:233] offset:1632
	;; [unrolled: 1-line block ×11, first 2 shown]
	v_add_f64 v[4:5], v[2:3], v[0:1]
	v_add_f64 v[236:237], v[218:219], -v[216:217]
	s_waitcnt vmcnt(0)
	v_mul_f64 v[28:29], v[194:195], v[190:191]
	v_fma_f64 v[232:233], v[4:5], -0.5, v[220:221]
	v_add_f64 v[4:5], v[218:219], v[216:217]
	v_fma_f64 v[198:199], v[192:193], v[188:189], -v[28:29]
	v_mul_f64 v[28:29], v[192:193], v[190:191]
	v_fma_f64 v[234:235], v[4:5], -0.5, v[206:207]
	v_fma_f64 v[4:5], v[236:237], s[2:3], v[232:233]
	v_fma_f64 v[208:209], v[194:195], v[188:189], v[28:29]
	v_add_f64 v[230:231], v[204:205], -v[198:199]
	v_fma_f64 v[6:7], v[238:239], s[0:1], v[234:235]
	v_mul_f64 v[8:9], v[4:5], -0.5
	v_add_f64 v[228:229], v[196:197], -v[208:209]
	v_fma_f64 v[210:211], v[6:7], s[0:1], v[8:9]
	v_mul_f64 v[6:7], v[6:7], -0.5
	v_fma_f64 v[214:215], v[4:5], s[2:3], v[6:7]
	v_add_f64 v[4:5], v[204:205], v[198:199]
	v_fma_f64 v[222:223], v[4:5], -0.5, v[200:201]
	v_add_f64 v[4:5], v[196:197], v[208:209]
	v_fma_f64 v[212:213], v[228:229], s[2:3], v[222:223]
	v_fma_f64 v[226:227], v[4:5], -0.5, v[202:203]
	v_add_f64 v[4:5], v[212:213], -v[210:211]
	v_fma_f64 v[224:225], v[230:231], s[0:1], v[226:227]
	v_add_f64 v[6:7], v[224:225], -v[214:215]
	buffer_store_dword v4, off, s[60:63], 0 offset:4 ; 4-byte Folded Spill
	buffer_store_dword v5, off, s[60:63], 0 offset:8 ; 4-byte Folded Spill
	;; [unrolled: 1-line block ×4, first 2 shown]
	s_and_saveexec_b32 s2, vcc_lo
	s_cbranch_execz .LBB0_5
; %bb.4:
	v_mul_f64 v[4:5], v[236:237], s[0:1]
	v_mul_f64 v[6:7], v[238:239], s[0:1]
	v_add_f64 v[8:9], v[202:203], v[196:197]
	v_add_f64 v[10:11], v[206:207], v[218:219]
	;; [unrolled: 1-line block ×4, first 2 shown]
	v_mul_f64 v[14:15], v[230:231], s[0:1]
	v_mul_f64 v[18:19], v[228:229], s[0:1]
	v_add_f64 v[4:5], v[4:5], v[232:233]
	v_add_f64 v[6:7], v[234:235], -v[6:7]
	v_add_f64 v[8:9], v[8:9], v[208:209]
	v_add_f64 v[10:11], v[10:11], v[216:217]
	;; [unrolled: 1-line block ×4, first 2 shown]
	v_add_f64 v[24:25], v[226:227], -v[14:15]
	v_add_f64 v[26:27], v[18:19], v[222:223]
	v_add_f64 v[2:3], v[224:225], v[214:215]
	;; [unrolled: 1-line block ×3, first 2 shown]
	v_mul_f64 v[16:17], v[4:5], s[0:1]
	v_mul_f64 v[20:21], v[6:7], s[0:1]
	v_fma_f64 v[16:17], v[6:7], 0.5, -v[16:17]
	v_fma_f64 v[20:21], v[4:5], 0.5, v[20:21]
	v_add_f64 v[6:7], v[8:9], -v[10:11]
	v_add_f64 v[10:11], v[8:9], v[10:11]
	v_add_f64 v[8:9], v[12:13], v[22:23]
	v_add_f64 v[4:5], v[12:13], -v[22:23]
	v_add_f64 v[14:15], v[24:25], -v[16:17]
	v_add_f64 v[18:19], v[24:25], v[16:17]
	v_add_f64 v[16:17], v[26:27], v[20:21]
	v_add_f64 v[12:13], v[26:27], -v[20:21]
	ds_write_b128 v248, v[0:3] offset:12512
	ds_write_b128 v248, v[8:11] offset:3264
	;; [unrolled: 1-line block ×5, first 2 shown]
	s_clause 0x3
	buffer_load_dword v0, off, s[60:63], 0 offset:4
	buffer_load_dword v1, off, s[60:63], 0 offset:8
	;; [unrolled: 1-line block ×4, first 2 shown]
	s_waitcnt vmcnt(0)
	ds_write_b128 v248, v[0:3] offset:26384
.LBB0_5:
	s_or_b32 exec_lo, exec_lo, s2
	v_add_co_u32 v12, s0, 0x6c60, v240
	v_add_co_ci_u32_e64 v13, s0, 0, v241, s0
	v_add_co_u32 v4, s0, 0x6800, v240
	v_add_co_ci_u32_e64 v5, s0, 0, v241, s0
	s_waitcnt lgkmcnt(0)
	s_waitcnt_vscnt null, 0x0
	s_barrier
	buffer_gl0_inv
	global_load_dwordx4 v[4:7], v[4:5], off offset:1120
	ds_read_b128 v[0:3], v248
	s_mov_b32 s48, 0x5d8e7cdc
	s_mov_b32 s36, 0x2a9d6da3
	;; [unrolled: 1-line block ×44, first 2 shown]
	s_waitcnt vmcnt(0) lgkmcnt(0)
	v_mul_f64 v[8:9], v[2:3], v[6:7]
	v_fma_f64 v[8:9], v[0:1], v[4:5], -v[8:9]
	v_mul_f64 v[0:1], v[0:1], v[6:7]
	v_fma_f64 v[10:11], v[2:3], v[4:5], v[0:1]
	global_load_dwordx4 v[4:7], v[12:13], off offset:1632
	ds_read_b128 v[0:3], v248 offset:1632
	v_add_co_u32 v12, s0, 0x7800, v240
	v_add_co_ci_u32_e64 v13, s0, 0, v241, s0
	ds_write_b128 v248, v[8:11]
	s_waitcnt vmcnt(0) lgkmcnt(1)
	v_mul_f64 v[8:9], v[2:3], v[6:7]
	v_fma_f64 v[8:9], v[0:1], v[4:5], -v[8:9]
	v_mul_f64 v[0:1], v[0:1], v[6:7]
	v_fma_f64 v[10:11], v[2:3], v[4:5], v[0:1]
	global_load_dwordx4 v[4:7], v[12:13], off offset:288
	ds_read_b128 v[0:3], v248 offset:3264
	ds_write_b128 v248, v[8:11] offset:1632
	s_waitcnt vmcnt(0) lgkmcnt(1)
	v_mul_f64 v[8:9], v[2:3], v[6:7]
	v_fma_f64 v[8:9], v[0:1], v[4:5], -v[8:9]
	v_mul_f64 v[0:1], v[0:1], v[6:7]
	v_fma_f64 v[10:11], v[2:3], v[4:5], v[0:1]
	global_load_dwordx4 v[4:7], v[12:13], off offset:1920
	ds_read_b128 v[0:3], v248 offset:4896
	ds_write_b128 v248, v[8:11] offset:3264
	s_waitcnt vmcnt(0) lgkmcnt(1)
	v_mul_f64 v[8:9], v[2:3], v[6:7]
	v_fma_f64 v[8:9], v[0:1], v[4:5], -v[8:9]
	v_mul_f64 v[0:1], v[0:1], v[6:7]
	v_fma_f64 v[10:11], v[2:3], v[4:5], v[0:1]
	v_add_co_u32 v4, s0, 0x8000, v240
	v_add_co_ci_u32_e64 v5, s0, 0, v241, s0
	ds_read_b128 v[0:3], v248 offset:6528
	global_load_dwordx4 v[4:7], v[4:5], off offset:1504
	ds_write_b128 v248, v[8:11] offset:4896
	s_waitcnt vmcnt(0) lgkmcnt(1)
	v_mul_f64 v[8:9], v[2:3], v[6:7]
	v_fma_f64 v[8:9], v[0:1], v[4:5], -v[8:9]
	v_mul_f64 v[0:1], v[0:1], v[6:7]
	v_fma_f64 v[10:11], v[2:3], v[4:5], v[0:1]
	v_add_co_u32 v4, s0, 0x8800, v240
	v_add_co_ci_u32_e64 v5, s0, 0, v241, s0
	ds_read_b128 v[0:3], v248 offset:8160
	global_load_dwordx4 v[4:7], v[4:5], off offset:1088
	ds_write_b128 v248, v[8:11] offset:6528
	s_waitcnt vmcnt(0) lgkmcnt(1)
	v_mul_f64 v[8:9], v[2:3], v[6:7]
	v_fma_f64 v[8:9], v[0:1], v[4:5], -v[8:9]
	v_mul_f64 v[0:1], v[0:1], v[6:7]
	v_fma_f64 v[10:11], v[2:3], v[4:5], v[0:1]
	v_add_co_u32 v4, s0, 0x9000, v240
	v_add_co_ci_u32_e64 v5, s0, 0, v241, s0
	ds_read_b128 v[0:3], v248 offset:9792
	v_add_co_u32 v12, s0, 0x9800, v240
	global_load_dwordx4 v[4:7], v[4:5], off offset:672
	v_add_co_ci_u32_e64 v13, s0, 0, v241, s0
	ds_write_b128 v248, v[8:11] offset:8160
	s_waitcnt vmcnt(0) lgkmcnt(1)
	v_mul_f64 v[8:9], v[2:3], v[6:7]
	v_fma_f64 v[8:9], v[0:1], v[4:5], -v[8:9]
	v_mul_f64 v[0:1], v[0:1], v[6:7]
	v_fma_f64 v[10:11], v[2:3], v[4:5], v[0:1]
	global_load_dwordx4 v[4:7], v[12:13], off offset:256
	ds_read_b128 v[0:3], v248 offset:11424
	ds_write_b128 v248, v[8:11] offset:9792
	s_waitcnt vmcnt(0) lgkmcnt(1)
	v_mul_f64 v[8:9], v[2:3], v[6:7]
	v_fma_f64 v[8:9], v[0:1], v[4:5], -v[8:9]
	v_mul_f64 v[0:1], v[0:1], v[6:7]
	v_fma_f64 v[10:11], v[2:3], v[4:5], v[0:1]
	global_load_dwordx4 v[4:7], v[12:13], off offset:1888
	ds_read_b128 v[0:3], v248 offset:13056
	ds_write_b128 v248, v[8:11] offset:11424
	s_waitcnt vmcnt(0) lgkmcnt(1)
	v_mul_f64 v[8:9], v[2:3], v[6:7]
	v_fma_f64 v[8:9], v[0:1], v[4:5], -v[8:9]
	v_mul_f64 v[0:1], v[0:1], v[6:7]
	v_fma_f64 v[10:11], v[2:3], v[4:5], v[0:1]
	v_add_co_u32 v4, s0, 0xa000, v240
	v_add_co_ci_u32_e64 v5, s0, 0, v241, s0
	ds_read_b128 v[0:3], v248 offset:14688
	global_load_dwordx4 v[4:7], v[4:5], off offset:1472
	ds_write_b128 v248, v[8:11] offset:13056
	s_waitcnt vmcnt(0) lgkmcnt(1)
	v_mul_f64 v[8:9], v[2:3], v[6:7]
	v_fma_f64 v[8:9], v[0:1], v[4:5], -v[8:9]
	v_mul_f64 v[0:1], v[0:1], v[6:7]
	v_fma_f64 v[10:11], v[2:3], v[4:5], v[0:1]
	v_add_co_u32 v4, s0, 0xa800, v240
	v_add_co_ci_u32_e64 v5, s0, 0, v241, s0
	ds_read_b128 v[0:3], v248 offset:16320
	global_load_dwordx4 v[4:7], v[4:5], off offset:1056
	ds_write_b128 v248, v[8:11] offset:14688
	s_waitcnt vmcnt(0) lgkmcnt(1)
	v_mul_f64 v[8:9], v[2:3], v[6:7]
	v_fma_f64 v[8:9], v[0:1], v[4:5], -v[8:9]
	v_mul_f64 v[0:1], v[0:1], v[6:7]
	v_fma_f64 v[10:11], v[2:3], v[4:5], v[0:1]
	v_add_co_u32 v4, s0, 0xb000, v240
	v_add_co_ci_u32_e64 v5, s0, 0, v241, s0
	ds_read_b128 v[0:3], v248 offset:17952
	v_add_co_u32 v12, s0, 0xb800, v240
	global_load_dwordx4 v[4:7], v[4:5], off offset:640
	v_add_co_ci_u32_e64 v13, s0, 0, v241, s0
	ds_write_b128 v248, v[8:11] offset:16320
	s_waitcnt vmcnt(0) lgkmcnt(1)
	v_mul_f64 v[8:9], v[2:3], v[6:7]
	v_fma_f64 v[8:9], v[0:1], v[4:5], -v[8:9]
	v_mul_f64 v[0:1], v[0:1], v[6:7]
	v_fma_f64 v[10:11], v[2:3], v[4:5], v[0:1]
	global_load_dwordx4 v[4:7], v[12:13], off offset:224
	ds_read_b128 v[0:3], v248 offset:19584
	ds_write_b128 v248, v[8:11] offset:17952
	s_waitcnt vmcnt(0) lgkmcnt(1)
	v_mul_f64 v[8:9], v[2:3], v[6:7]
	v_fma_f64 v[8:9], v[0:1], v[4:5], -v[8:9]
	v_mul_f64 v[0:1], v[0:1], v[6:7]
	v_fma_f64 v[10:11], v[2:3], v[4:5], v[0:1]
	global_load_dwordx4 v[4:7], v[12:13], off offset:1856
	ds_read_b128 v[0:3], v248 offset:21216
	ds_write_b128 v248, v[8:11] offset:19584
	s_waitcnt vmcnt(0) lgkmcnt(1)
	v_mul_f64 v[8:9], v[2:3], v[6:7]
	v_fma_f64 v[8:9], v[0:1], v[4:5], -v[8:9]
	v_mul_f64 v[0:1], v[0:1], v[6:7]
	v_fma_f64 v[10:11], v[2:3], v[4:5], v[0:1]
	v_add_co_u32 v4, s0, 0xc000, v240
	v_add_co_ci_u32_e64 v5, s0, 0, v241, s0
	ds_read_b128 v[0:3], v248 offset:22848
	global_load_dwordx4 v[4:7], v[4:5], off offset:1440
	ds_write_b128 v248, v[8:11] offset:21216
	s_waitcnt vmcnt(0) lgkmcnt(1)
	v_mul_f64 v[8:9], v[2:3], v[6:7]
	v_fma_f64 v[8:9], v[0:1], v[4:5], -v[8:9]
	v_mul_f64 v[0:1], v[0:1], v[6:7]
	v_fma_f64 v[10:11], v[2:3], v[4:5], v[0:1]
	v_add_co_u32 v4, s0, 0xc800, v240
	v_add_co_ci_u32_e64 v5, s0, 0, v241, s0
	ds_read_b128 v[0:3], v248 offset:24480
	global_load_dwordx4 v[4:7], v[4:5], off offset:1024
	ds_write_b128 v248, v[8:11] offset:22848
	s_waitcnt vmcnt(0) lgkmcnt(1)
	v_mul_f64 v[8:9], v[2:3], v[6:7]
	v_fma_f64 v[8:9], v[0:1], v[4:5], -v[8:9]
	v_mul_f64 v[0:1], v[0:1], v[6:7]
	v_fma_f64 v[10:11], v[2:3], v[4:5], v[0:1]
	v_add_co_u32 v4, s0, 0xd000, v240
	v_add_co_ci_u32_e64 v5, s0, 0, v241, s0
	ds_read_b128 v[0:3], v248 offset:26112
	s_mov_b32 s0, s8
	global_load_dwordx4 v[4:7], v[4:5], off offset:608
	ds_write_b128 v248, v[8:11] offset:24480
	s_waitcnt vmcnt(0) lgkmcnt(1)
	v_mul_f64 v[8:9], v[2:3], v[6:7]
	v_fma_f64 v[8:9], v[0:1], v[4:5], -v[8:9]
	v_mul_f64 v[0:1], v[0:1], v[6:7]
	v_fma_f64 v[10:11], v[2:3], v[4:5], v[0:1]
	ds_write_b128 v248, v[8:11] offset:26112
	s_waitcnt lgkmcnt(0)
	s_barrier
	buffer_gl0_inv
	ds_read_b128 v[0:3], v248
	ds_read_b128 v[4:7], v248 offset:1632
	ds_read_b128 v[8:11], v248 offset:3264
	;; [unrolled: 1-line block ×16, first 2 shown]
	s_waitcnt lgkmcnt(15)
	v_add_f64 v[28:29], v[0:1], v[4:5]
	v_add_f64 v[30:31], v[2:3], v[6:7]
	s_waitcnt lgkmcnt(14)
	v_add_f64 v[28:29], v[28:29], v[8:9]
	v_add_f64 v[30:31], v[30:31], v[10:11]
	s_waitcnt lgkmcnt(13)
	v_add_f64 v[28:29], v[28:29], v[12:13]
	v_add_f64 v[30:31], v[30:31], v[14:15]
	s_waitcnt lgkmcnt(12)
	v_add_f64 v[28:29], v[28:29], v[232:233]
	v_add_f64 v[30:31], v[30:31], v[234:235]
	s_waitcnt lgkmcnt(11)
	v_add_f64 v[28:29], v[28:29], v[224:225]
	v_add_f64 v[30:31], v[30:31], v[226:227]
	s_waitcnt lgkmcnt(10)
	v_add_f64 v[28:29], v[28:29], v[216:217]
	v_add_f64 v[30:31], v[30:31], v[218:219]
	s_waitcnt lgkmcnt(9)
	v_add_f64 v[28:29], v[28:29], v[208:209]
	v_add_f64 v[30:31], v[30:31], v[210:211]
	s_waitcnt lgkmcnt(8)
	v_add_f64 v[28:29], v[28:29], v[200:201]
	v_add_f64 v[30:31], v[30:31], v[202:203]
	s_waitcnt lgkmcnt(7)
	v_add_f64 v[28:29], v[28:29], v[204:205]
	v_add_f64 v[30:31], v[30:31], v[206:207]
	s_waitcnt lgkmcnt(6)
	v_add_f64 v[28:29], v[28:29], v[212:213]
	v_add_f64 v[30:31], v[30:31], v[214:215]
	s_waitcnt lgkmcnt(5)
	v_add_f64 v[28:29], v[28:29], v[220:221]
	v_add_f64 v[30:31], v[30:31], v[222:223]
	s_waitcnt lgkmcnt(4)
	v_add_f64 v[28:29], v[28:29], v[228:229]
	v_add_f64 v[30:31], v[30:31], v[230:231]
	s_waitcnt lgkmcnt(3)
	v_add_f64 v[28:29], v[28:29], v[236:237]
	v_add_f64 v[30:31], v[30:31], v[238:239]
	s_waitcnt lgkmcnt(2)
	v_add_f64 v[28:29], v[28:29], v[16:17]
	v_add_f64 v[30:31], v[30:31], v[18:19]
	s_waitcnt lgkmcnt(1)
	v_add_f64 v[28:29], v[28:29], v[20:21]
	v_add_f64 v[30:31], v[30:31], v[22:23]
	s_waitcnt lgkmcnt(0)
	v_add_f64 v[28:29], v[28:29], v[24:25]
	v_add_f64 v[30:31], v[30:31], v[26:27]
	buffer_store_dword v28, off, s[60:63], 0 offset:300 ; 4-byte Folded Spill
	buffer_store_dword v29, off, s[60:63], 0 offset:304 ; 4-byte Folded Spill
	;; [unrolled: 1-line block ×4, first 2 shown]
	v_add_f64 v[30:31], v[6:7], v[26:27]
	v_add_f64 v[6:7], v[6:7], -v[26:27]
	v_add_f64 v[28:29], v[4:5], v[24:25]
	v_add_f64 v[4:5], v[4:5], -v[24:25]
	s_waitcnt_vscnt null, 0x0
	s_barrier
	buffer_gl0_inv
	v_mul_f64 v[32:33], v[30:31], s[44:45]
	v_mul_f64 v[24:25], v[6:7], s[48:49]
	;; [unrolled: 1-line block ×16, first 2 shown]
	v_fma_f64 v[34:35], v[4:5], s[46:47], v[32:33]
	v_fma_f64 v[26:27], v[28:29], s[44:45], v[24:25]
	v_fma_f64 v[24:25], v[28:29], s[44:45], -v[24:25]
	v_fma_f64 v[38:39], v[28:29], s[30:31], v[36:37]
	v_fma_f64 v[36:37], v[28:29], s[30:31], -v[36:37]
	;; [unrolled: 2-line block ×8, first 2 shown]
	v_fma_f64 v[32:33], v[4:5], s[48:49], v[32:33]
	v_fma_f64 v[242:243], v[4:5], s[34:35], v[240:241]
	;; [unrolled: 1-line block ×6, first 2 shown]
	v_add_f64 v[26:27], v[0:1], v[26:27]
	v_add_f64 v[24:25], v[0:1], v[24:25]
	;; [unrolled: 1-line block ×8, first 2 shown]
	v_fma_f64 v[44:45], v[4:5], s[8:9], v[44:45]
	v_add_f64 v[50:51], v[0:1], v[50:51]
	v_fma_f64 v[54:55], v[4:5], s[16:17], v[52:53]
	v_add_f64 v[48:49], v[0:1], v[48:49]
	;; [unrolled: 2-line block ×9, first 2 shown]
	v_add_f64 v[10:11], v[10:11], -v[22:23]
	v_add_f64 v[34:35], v[2:3], v[34:35]
	v_add_f64 v[32:33], v[2:3], v[32:33]
	;; [unrolled: 1-line block ×17, first 2 shown]
	v_add_f64 v[8:9], v[8:9], -v[20:21]
	v_mul_f64 v[20:21], v[10:11], s[36:37]
	v_fma_f64 v[22:23], v[4:5], s[30:31], v[20:21]
	v_fma_f64 v[20:21], v[4:5], s[30:31], -v[20:21]
	v_add_f64 v[22:23], v[22:23], v[26:27]
	v_mul_f64 v[26:27], v[6:7], s[30:31]
	v_add_f64 v[20:21], v[20:21], v[24:25]
	v_fma_f64 v[28:29], v[8:9], s[34:35], v[26:27]
	v_fma_f64 v[24:25], v[8:9], s[36:37], v[26:27]
	v_mul_f64 v[26:27], v[10:11], s[8:9]
	v_add_f64 v[28:29], v[28:29], v[34:35]
	v_add_f64 v[24:25], v[24:25], v[32:33]
	v_fma_f64 v[30:31], v[4:5], s[2:3], v[26:27]
	v_fma_f64 v[26:27], v[4:5], s[2:3], -v[26:27]
	v_mul_f64 v[32:33], v[6:7], s[2:3]
	v_add_f64 v[30:31], v[30:31], v[38:39]
	v_add_f64 v[26:27], v[26:27], v[36:37]
	v_mul_f64 v[36:37], v[10:11], s[24:25]
	v_fma_f64 v[34:35], v[8:9], s[0:1], v[32:33]
	v_fma_f64 v[32:33], v[8:9], s[8:9], v[32:33]
	;; [unrolled: 1-line block ×3, first 2 shown]
	v_fma_f64 v[36:37], v[4:5], s[26:27], -v[36:37]
	v_add_f64 v[32:33], v[32:33], v[240:241]
	v_mul_f64 v[240:241], v[6:7], s[26:27]
	v_add_f64 v[34:35], v[34:35], v[242:243]
	v_add_f64 v[38:39], v[38:39], v[250:251]
	;; [unrolled: 1-line block ×3, first 2 shown]
	v_mul_f64 v[245:246], v[10:11], s[50:51]
	v_fma_f64 v[242:243], v[8:9], s[28:29], v[240:241]
	v_fma_f64 v[240:241], v[8:9], s[24:25], v[240:241]
	;; [unrolled: 1-line block ×3, first 2 shown]
	v_fma_f64 v[245:246], v[4:5], s[52:53], -v[245:246]
	v_add_f64 v[240:241], v[240:241], v[252:253]
	v_add_f64 v[242:243], v[242:243], v[254:255]
	v_add_f64 v[42:43], v[250:251], v[42:43]
	v_mul_f64 v[250:251], v[6:7], s[52:53]
	v_add_f64 v[40:41], v[245:246], v[40:41]
	v_fma_f64 v[245:246], v[8:9], s[50:51], v[250:251]
	v_fma_f64 v[252:253], v[8:9], s[54:55], v[250:251]
	v_add_f64 v[44:45], v[245:246], v[44:45]
	v_mul_f64 v[245:246], v[10:11], s[42:43]
	v_add_f64 v[46:47], v[252:253], v[46:47]
	v_fma_f64 v[250:251], v[4:5], s[40:41], v[245:246]
	v_fma_f64 v[245:246], v[4:5], s[40:41], -v[245:246]
	v_add_f64 v[50:51], v[250:251], v[50:51]
	v_mul_f64 v[250:251], v[6:7], s[40:41]
	v_add_f64 v[48:49], v[245:246], v[48:49]
	v_fma_f64 v[245:246], v[8:9], s[42:43], v[250:251]
	v_fma_f64 v[252:253], v[8:9], s[38:39], v[250:251]
	v_add_f64 v[52:53], v[245:246], v[52:53]
	v_mul_f64 v[245:246], v[10:11], s[16:17]
	v_add_f64 v[54:55], v[252:253], v[54:55]
	v_fma_f64 v[250:251], v[4:5], s[14:15], v[245:246]
	v_fma_f64 v[245:246], v[4:5], s[14:15], -v[245:246]
	v_add_f64 v[58:59], v[250:251], v[58:59]
	v_mul_f64 v[250:251], v[6:7], s[14:15]
	v_add_f64 v[56:57], v[245:246], v[56:57]
	v_fma_f64 v[245:246], v[8:9], s[16:17], v[250:251]
	v_fma_f64 v[252:253], v[8:9], s[10:11], v[250:251]
	v_add_f64 v[60:61], v[245:246], v[60:61]
	v_mul_f64 v[245:246], v[10:11], s[20:21]
	v_mul_f64 v[10:11], v[10:11], s[46:47]
	v_add_f64 v[62:63], v[252:253], v[62:63]
	v_fma_f64 v[250:251], v[4:5], s[18:19], v[245:246]
	v_fma_f64 v[245:246], v[4:5], s[18:19], -v[245:246]
	v_add_f64 v[66:67], v[250:251], v[66:67]
	v_mul_f64 v[250:251], v[6:7], s[18:19]
	v_add_f64 v[64:65], v[245:246], v[64:65]
	v_mul_f64 v[6:7], v[6:7], s[44:45]
	v_fma_f64 v[245:246], v[8:9], s[20:21], v[250:251]
	v_fma_f64 v[252:253], v[8:9], s[22:23], v[250:251]
	v_add_f64 v[250:251], v[200:201], v[204:205]
	v_add_f64 v[192:193], v[245:246], v[192:193]
	v_fma_f64 v[245:246], v[4:5], s[44:45], v[10:11]
	v_fma_f64 v[4:5], v[4:5], s[44:45], -v[10:11]
	v_add_f64 v[10:11], v[14:15], -v[18:19]
	v_add_f64 v[194:195], v[252:253], v[194:195]
	v_add_f64 v[196:197], v[245:246], v[196:197]
	v_add_f64 v[0:1], v[4:5], v[0:1]
	v_fma_f64 v[4:5], v[8:9], s[46:47], v[6:7]
	v_fma_f64 v[245:246], v[8:9], s[48:49], v[6:7]
	v_add_f64 v[8:9], v[12:13], -v[16:17]
	v_add_f64 v[6:7], v[14:15], v[18:19]
	v_add_f64 v[2:3], v[4:5], v[2:3]
	;; [unrolled: 1-line block ×3, first 2 shown]
	v_mul_f64 v[12:13], v[10:11], s[22:23]
	v_mul_f64 v[16:17], v[6:7], s[18:19]
	v_add_f64 v[198:199], v[245:246], v[198:199]
	v_add_f64 v[246:247], v[202:203], -v[206:207]
	v_fma_f64 v[14:15], v[4:5], s[18:19], v[12:13]
	v_fma_f64 v[12:13], v[4:5], s[18:19], -v[12:13]
	v_fma_f64 v[18:19], v[8:9], s[20:21], v[16:17]
	v_fma_f64 v[16:17], v[8:9], s[22:23], v[16:17]
	v_add_f64 v[14:15], v[14:15], v[22:23]
	v_add_f64 v[12:13], v[12:13], v[20:21]
	v_mul_f64 v[20:21], v[10:11], s[24:25]
	v_add_f64 v[16:17], v[16:17], v[24:25]
	v_mul_f64 v[24:25], v[6:7], s[26:27]
	v_add_f64 v[18:19], v[18:19], v[28:29]
	v_fma_f64 v[22:23], v[4:5], s[26:27], v[20:21]
	v_fma_f64 v[20:21], v[4:5], s[26:27], -v[20:21]
	v_fma_f64 v[28:29], v[8:9], s[28:29], v[24:25]
	v_fma_f64 v[24:25], v[8:9], s[24:25], v[24:25]
	v_add_f64 v[22:23], v[22:23], v[30:31]
	v_add_f64 v[20:21], v[20:21], v[26:27]
	v_mul_f64 v[26:27], v[10:11], s[54:55]
	v_add_f64 v[24:25], v[24:25], v[32:33]
	v_mul_f64 v[32:33], v[6:7], s[52:53]
	v_add_f64 v[28:29], v[28:29], v[34:35]
	v_fma_f64 v[30:31], v[4:5], s[52:53], v[26:27]
	v_fma_f64 v[26:27], v[4:5], s[52:53], -v[26:27]
	v_fma_f64 v[34:35], v[8:9], s[50:51], v[32:33]
	v_fma_f64 v[32:33], v[8:9], s[54:55], v[32:33]
	v_add_f64 v[30:31], v[30:31], v[38:39]
	v_add_f64 v[26:27], v[26:27], v[36:37]
	v_mul_f64 v[36:37], v[10:11], s[16:17]
	v_add_f64 v[32:33], v[32:33], v[240:241]
	v_add_f64 v[34:35], v[34:35], v[242:243]
	v_fma_f64 v[38:39], v[4:5], s[14:15], v[36:37]
	v_fma_f64 v[36:37], v[4:5], s[14:15], -v[36:37]
	v_add_f64 v[38:39], v[38:39], v[42:43]
	v_mul_f64 v[42:43], v[6:7], s[14:15]
	v_add_f64 v[36:37], v[36:37], v[40:41]
	v_fma_f64 v[240:241], v[8:9], s[10:11], v[42:43]
	v_fma_f64 v[40:41], v[8:9], s[16:17], v[42:43]
	v_mul_f64 v[42:43], v[10:11], s[34:35]
	v_add_f64 v[46:47], v[240:241], v[46:47]
	v_add_f64 v[40:41], v[40:41], v[44:45]
	v_fma_f64 v[44:45], v[4:5], s[30:31], v[42:43]
	v_fma_f64 v[42:43], v[4:5], s[30:31], -v[42:43]
	v_add_f64 v[44:45], v[44:45], v[50:51]
	v_mul_f64 v[50:51], v[6:7], s[30:31]
	v_add_f64 v[42:43], v[42:43], v[48:49]
	v_fma_f64 v[240:241], v[8:9], s[36:37], v[50:51]
	v_fma_f64 v[48:49], v[8:9], s[34:35], v[50:51]
	v_mul_f64 v[50:51], v[10:11], s[48:49]
	v_add_f64 v[54:55], v[240:241], v[54:55]
	v_add_f64 v[48:49], v[48:49], v[52:53]
	v_fma_f64 v[52:53], v[4:5], s[44:45], v[50:51]
	v_fma_f64 v[50:51], v[4:5], s[44:45], -v[50:51]
	v_add_f64 v[52:53], v[52:53], v[58:59]
	v_mul_f64 v[58:59], v[6:7], s[44:45]
	v_add_f64 v[50:51], v[50:51], v[56:57]
	v_fma_f64 v[240:241], v[8:9], s[46:47], v[58:59]
	v_fma_f64 v[56:57], v[8:9], s[48:49], v[58:59]
	v_mul_f64 v[58:59], v[10:11], s[8:9]
	v_mul_f64 v[10:11], v[10:11], s[38:39]
	v_add_f64 v[62:63], v[240:241], v[62:63]
	v_add_f64 v[56:57], v[56:57], v[60:61]
	v_fma_f64 v[60:61], v[4:5], s[2:3], v[58:59]
	v_fma_f64 v[58:59], v[4:5], s[2:3], -v[58:59]
	v_add_f64 v[60:61], v[60:61], v[66:67]
	v_mul_f64 v[66:67], v[6:7], s[2:3]
	v_add_f64 v[58:59], v[58:59], v[64:65]
	v_mul_f64 v[6:7], v[6:7], s[40:41]
	v_fma_f64 v[240:241], v[8:9], s[0:1], v[66:67]
	v_fma_f64 v[64:65], v[8:9], s[8:9], v[66:67]
	;; [unrolled: 1-line block ×3, first 2 shown]
	v_fma_f64 v[4:5], v[4:5], s[40:41], -v[10:11]
	v_add_f64 v[10:11], v[234:235], -v[238:239]
	v_add_f64 v[194:195], v[240:241], v[194:195]
	v_add_f64 v[64:65], v[64:65], v[192:193]
	;; [unrolled: 1-line block ×4, first 2 shown]
	v_fma_f64 v[4:5], v[8:9], s[38:39], v[6:7]
	v_fma_f64 v[192:193], v[8:9], s[42:43], v[6:7]
	v_mul_f64 v[196:197], v[10:11], s[8:9]
	v_add_f64 v[6:7], v[234:235], v[238:239]
	v_add_f64 v[8:9], v[232:233], -v[236:237]
	v_add_f64 v[2:3], v[4:5], v[2:3]
	v_add_f64 v[4:5], v[232:233], v[236:237]
	;; [unrolled: 1-line block ×3, first 2 shown]
	v_fma_f64 v[198:199], v[4:5], s[2:3], v[196:197]
	v_fma_f64 v[196:197], v[4:5], s[2:3], -v[196:197]
	v_add_f64 v[14:15], v[198:199], v[14:15]
	v_mul_f64 v[198:199], v[6:7], s[2:3]
	v_add_f64 v[12:13], v[196:197], v[12:13]
	v_fma_f64 v[196:197], v[8:9], s[8:9], v[198:199]
	v_fma_f64 v[232:233], v[8:9], s[0:1], v[198:199]
	v_add_f64 v[16:17], v[196:197], v[16:17]
	v_mul_f64 v[196:197], v[10:11], s[50:51]
	v_add_f64 v[18:19], v[232:233], v[18:19]
	v_fma_f64 v[198:199], v[4:5], s[52:53], v[196:197]
	v_fma_f64 v[196:197], v[4:5], s[52:53], -v[196:197]
	v_add_f64 v[22:23], v[198:199], v[22:23]
	v_mul_f64 v[198:199], v[6:7], s[52:53]
	v_add_f64 v[20:21], v[196:197], v[20:21]
	v_fma_f64 v[196:197], v[8:9], s[50:51], v[198:199]
	v_fma_f64 v[232:233], v[8:9], s[54:55], v[198:199]
	v_add_f64 v[24:25], v[196:197], v[24:25]
	v_mul_f64 v[196:197], v[10:11], s[16:17]
	v_add_f64 v[28:29], v[232:233], v[28:29]
	;; [unrolled: 10-line block ×5, first 2 shown]
	v_fma_f64 v[198:199], v[4:5], s[40:41], v[196:197]
	v_fma_f64 v[196:197], v[4:5], s[40:41], -v[196:197]
	v_add_f64 v[52:53], v[198:199], v[52:53]
	v_mul_f64 v[198:199], v[6:7], s[40:41]
	v_add_f64 v[50:51], v[196:197], v[50:51]
	v_fma_f64 v[196:197], v[8:9], s[38:39], v[198:199]
	v_fma_f64 v[232:233], v[8:9], s[42:43], v[198:199]
	v_add_f64 v[56:57], v[196:197], v[56:57]
	v_mul_f64 v[196:197], v[10:11], s[28:29]
	v_mul_f64 v[10:11], v[10:11], s[34:35]
	v_add_f64 v[62:63], v[232:233], v[62:63]
	v_fma_f64 v[198:199], v[4:5], s[26:27], v[196:197]
	v_fma_f64 v[196:197], v[4:5], s[26:27], -v[196:197]
	v_add_f64 v[60:61], v[198:199], v[60:61]
	v_mul_f64 v[198:199], v[6:7], s[26:27]
	v_add_f64 v[58:59], v[196:197], v[58:59]
	v_mul_f64 v[6:7], v[6:7], s[30:31]
	v_fma_f64 v[196:197], v[8:9], s[28:29], v[198:199]
	v_fma_f64 v[232:233], v[8:9], s[24:25], v[198:199]
	v_add_f64 v[64:65], v[196:197], v[64:65]
	v_fma_f64 v[196:197], v[4:5], s[30:31], v[10:11]
	v_fma_f64 v[4:5], v[4:5], s[30:31], -v[10:11]
	v_add_f64 v[10:11], v[226:227], -v[230:231]
	v_add_f64 v[194:195], v[232:233], v[194:195]
	v_add_f64 v[66:67], v[196:197], v[66:67]
	v_fma_f64 v[196:197], v[8:9], s[36:37], v[6:7]
	v_add_f64 v[0:1], v[4:5], v[0:1]
	v_fma_f64 v[4:5], v[8:9], s[34:35], v[6:7]
	v_add_f64 v[6:7], v[226:227], v[230:231]
	v_add_f64 v[8:9], v[224:225], -v[228:229]
	v_add_f64 v[192:193], v[196:197], v[192:193]
	v_mul_f64 v[196:197], v[10:11], s[10:11]
	v_add_f64 v[2:3], v[4:5], v[2:3]
	v_add_f64 v[4:5], v[224:225], v[228:229]
	v_fma_f64 v[198:199], v[4:5], s[14:15], v[196:197]
	v_fma_f64 v[196:197], v[4:5], s[14:15], -v[196:197]
	v_add_f64 v[14:15], v[198:199], v[14:15]
	v_mul_f64 v[198:199], v[6:7], s[14:15]
	v_add_f64 v[12:13], v[196:197], v[12:13]
	v_fma_f64 v[196:197], v[8:9], s[10:11], v[198:199]
	v_fma_f64 v[224:225], v[8:9], s[16:17], v[198:199]
	v_add_f64 v[16:17], v[196:197], v[16:17]
	v_mul_f64 v[196:197], v[10:11], s[42:43]
	v_add_f64 v[18:19], v[224:225], v[18:19]
	v_fma_f64 v[198:199], v[4:5], s[40:41], v[196:197]
	v_fma_f64 v[196:197], v[4:5], s[40:41], -v[196:197]
	v_add_f64 v[22:23], v[198:199], v[22:23]
	v_mul_f64 v[198:199], v[6:7], s[40:41]
	v_add_f64 v[20:21], v[196:197], v[20:21]
	v_fma_f64 v[196:197], v[8:9], s[42:43], v[198:199]
	v_fma_f64 v[224:225], v[8:9], s[38:39], v[198:199]
	v_add_f64 v[24:25], v[196:197], v[24:25]
	v_mul_f64 v[196:197], v[10:11], s[34:35]
	;; [unrolled: 10-line block ×6, first 2 shown]
	v_mul_f64 v[10:11], v[10:11], s[24:25]
	v_add_f64 v[62:63], v[224:225], v[62:63]
	v_fma_f64 v[198:199], v[4:5], s[44:45], v[196:197]
	v_fma_f64 v[196:197], v[4:5], s[44:45], -v[196:197]
	v_add_f64 v[60:61], v[198:199], v[60:61]
	v_mul_f64 v[198:199], v[6:7], s[44:45]
	v_add_f64 v[58:59], v[196:197], v[58:59]
	v_mul_f64 v[6:7], v[6:7], s[26:27]
	v_fma_f64 v[196:197], v[8:9], s[48:49], v[198:199]
	v_fma_f64 v[224:225], v[8:9], s[46:47], v[198:199]
	v_add_f64 v[64:65], v[196:197], v[64:65]
	v_fma_f64 v[196:197], v[4:5], s[26:27], v[10:11]
	v_fma_f64 v[4:5], v[4:5], s[26:27], -v[10:11]
	v_add_f64 v[10:11], v[218:219], -v[222:223]
	v_add_f64 v[194:195], v[224:225], v[194:195]
	v_add_f64 v[66:67], v[196:197], v[66:67]
	v_fma_f64 v[196:197], v[8:9], s[28:29], v[6:7]
	v_add_f64 v[0:1], v[4:5], v[0:1]
	v_fma_f64 v[4:5], v[8:9], s[24:25], v[6:7]
	v_add_f64 v[6:7], v[218:219], v[222:223]
	v_add_f64 v[8:9], v[216:217], -v[220:221]
	v_add_f64 v[192:193], v[196:197], v[192:193]
	v_mul_f64 v[196:197], v[10:11], s[24:25]
	v_add_f64 v[2:3], v[4:5], v[2:3]
	v_add_f64 v[4:5], v[216:217], v[220:221]
	v_fma_f64 v[198:199], v[4:5], s[26:27], v[196:197]
	v_fma_f64 v[196:197], v[4:5], s[26:27], -v[196:197]
	v_add_f64 v[14:15], v[198:199], v[14:15]
	v_mul_f64 v[198:199], v[6:7], s[26:27]
	v_add_f64 v[12:13], v[196:197], v[12:13]
	v_fma_f64 v[196:197], v[8:9], s[24:25], v[198:199]
	v_fma_f64 v[216:217], v[8:9], s[28:29], v[198:199]
	v_add_f64 v[16:17], v[196:197], v[16:17]
	v_mul_f64 v[196:197], v[10:11], s[16:17]
	v_add_f64 v[18:19], v[216:217], v[18:19]
	v_fma_f64 v[198:199], v[4:5], s[14:15], v[196:197]
	v_fma_f64 v[196:197], v[4:5], s[14:15], -v[196:197]
	v_add_f64 v[22:23], v[198:199], v[22:23]
	v_mul_f64 v[198:199], v[6:7], s[14:15]
	v_add_f64 v[20:21], v[196:197], v[20:21]
	v_fma_f64 v[196:197], v[8:9], s[16:17], v[198:199]
	v_fma_f64 v[216:217], v[8:9], s[10:11], v[198:199]
	v_add_f64 v[24:25], v[196:197], v[24:25]
	v_mul_f64 v[196:197], v[10:11], s[48:49]
	;; [unrolled: 10-line block ×6, first 2 shown]
	v_mul_f64 v[10:11], v[10:11], s[20:21]
	v_add_f64 v[62:63], v[216:217], v[62:63]
	v_fma_f64 v[198:199], v[4:5], s[52:53], v[196:197]
	v_fma_f64 v[196:197], v[4:5], s[52:53], -v[196:197]
	v_add_f64 v[60:61], v[198:199], v[60:61]
	v_mul_f64 v[198:199], v[6:7], s[52:53]
	v_add_f64 v[58:59], v[196:197], v[58:59]
	v_mul_f64 v[6:7], v[6:7], s[18:19]
	v_fma_f64 v[196:197], v[8:9], s[50:51], v[198:199]
	v_fma_f64 v[216:217], v[8:9], s[54:55], v[198:199]
	v_add_f64 v[64:65], v[196:197], v[64:65]
	v_fma_f64 v[196:197], v[4:5], s[18:19], v[10:11]
	v_fma_f64 v[4:5], v[4:5], s[18:19], -v[10:11]
	v_add_f64 v[10:11], v[210:211], -v[214:215]
	v_add_f64 v[194:195], v[216:217], v[194:195]
	v_add_f64 v[66:67], v[196:197], v[66:67]
	v_fma_f64 v[196:197], v[8:9], s[22:23], v[6:7]
	v_add_f64 v[0:1], v[4:5], v[0:1]
	v_fma_f64 v[4:5], v[8:9], s[20:21], v[6:7]
	v_add_f64 v[6:7], v[210:211], v[214:215]
	v_add_f64 v[8:9], v[208:209], -v[212:213]
	v_add_f64 v[192:193], v[196:197], v[192:193]
	v_mul_f64 v[196:197], v[10:11], s[38:39]
	v_add_f64 v[2:3], v[4:5], v[2:3]
	v_add_f64 v[4:5], v[208:209], v[212:213]
	v_fma_f64 v[198:199], v[4:5], s[40:41], v[196:197]
	v_add_f64 v[208:209], v[198:199], v[14:15]
	v_mul_f64 v[14:15], v[6:7], s[40:41]
	v_fma_f64 v[198:199], v[8:9], s[42:43], v[14:15]
	v_add_f64 v[214:215], v[198:199], v[18:19]
	v_fma_f64 v[18:19], v[4:5], s[40:41], -v[196:197]
	v_add_f64 v[212:213], v[18:19], v[12:13]
	v_fma_f64 v[12:13], v[8:9], s[38:39], v[14:15]
	v_add_f64 v[210:211], v[12:13], v[16:17]
	v_mul_f64 v[12:13], v[10:11], s[20:21]
	v_fma_f64 v[14:15], v[4:5], s[18:19], v[12:13]
	v_fma_f64 v[12:13], v[4:5], s[18:19], -v[12:13]
	v_add_f64 v[216:217], v[14:15], v[22:23]
	v_mul_f64 v[14:15], v[6:7], s[18:19]
	v_add_f64 v[220:221], v[12:13], v[20:21]
	v_fma_f64 v[12:13], v[8:9], s[20:21], v[14:15]
	v_fma_f64 v[16:17], v[8:9], s[22:23], v[14:15]
	v_add_f64 v[222:223], v[12:13], v[24:25]
	v_mul_f64 v[12:13], v[10:11], s[8:9]
	v_add_f64 v[218:219], v[16:17], v[28:29]
	v_fma_f64 v[14:15], v[4:5], s[2:3], v[12:13]
	v_fma_f64 v[12:13], v[4:5], s[2:3], -v[12:13]
	v_add_f64 v[224:225], v[14:15], v[30:31]
	v_mul_f64 v[14:15], v[6:7], s[2:3]
	v_add_f64 v[228:229], v[12:13], v[26:27]
	v_fma_f64 v[12:13], v[8:9], s[8:9], v[14:15]
	v_fma_f64 v[16:17], v[8:9], s[0:1], v[14:15]
	v_add_f64 v[230:231], v[12:13], v[32:33]
	v_mul_f64 v[12:13], v[10:11], s[28:29]
	v_add_f64 v[226:227], v[16:17], v[34:35]
	;; [unrolled: 10-line block ×5, first 2 shown]
	v_mul_f64 v[10:11], v[10:11], s[10:11]
	v_fma_f64 v[14:15], v[4:5], s[30:31], v[12:13]
	v_fma_f64 v[12:13], v[4:5], s[30:31], -v[12:13]
	v_add_f64 v[30:31], v[14:15], v[60:61]
	v_mul_f64 v[14:15], v[6:7], s[30:31]
	v_add_f64 v[20:21], v[12:13], v[58:59]
	v_mul_f64 v[6:7], v[6:7], s[14:15]
	v_fma_f64 v[16:17], v[8:9], s[36:37], v[14:15]
	v_fma_f64 v[12:13], v[8:9], s[34:35], v[14:15]
	v_add_f64 v[28:29], v[16:17], v[194:195]
	v_add_f64 v[16:17], v[12:13], v[64:65]
	v_fma_f64 v[12:13], v[4:5], s[14:15], v[10:11]
	v_fma_f64 v[4:5], v[4:5], s[14:15], -v[10:11]
	v_add_f64 v[18:19], v[12:13], v[66:67]
	v_add_f64 v[24:25], v[4:5], v[0:1]
	v_fma_f64 v[0:1], v[8:9], s[10:11], v[6:7]
	v_mul_f64 v[4:5], v[246:247], s[50:51]
	v_fma_f64 v[12:13], v[8:9], s[16:17], v[6:7]
	v_add_f64 v[22:23], v[0:1], v[2:3]
	v_add_f64 v[2:3], v[202:203], v[206:207]
	v_fma_f64 v[6:7], v[250:251], s[52:53], v[4:5]
	v_add_f64 v[0:1], v[200:201], -v[204:205]
	v_fma_f64 v[4:5], v[250:251], s[52:53], -v[4:5]
	v_add_f64 v[26:27], v[12:13], v[192:193]
	v_mul_f64 v[12:13], v[246:247], s[10:11]
	v_mul_f64 v[14:15], v[2:3], s[14:15]
	v_add_f64 v[204:205], v[6:7], v[208:209]
	v_mul_f64 v[6:7], v[2:3], s[52:53]
	v_add_f64 v[200:201], v[4:5], v[212:213]
	v_fma_f64 v[10:11], v[0:1], s[16:17], v[14:15]
	v_fma_f64 v[14:15], v[0:1], s[10:11], v[14:15]
	;; [unrolled: 1-line block ×4, first 2 shown]
	v_add_f64 v[10:11], v[10:11], v[28:29]
	v_add_f64 v[14:15], v[14:15], v[16:17]
	;; [unrolled: 1-line block ×3, first 2 shown]
	v_mul_f64 v[4:5], v[246:247], s[46:47]
	v_add_f64 v[206:207], v[8:9], v[214:215]
	v_fma_f64 v[6:7], v[250:251], s[44:45], v[4:5]
	v_fma_f64 v[4:5], v[250:251], s[44:45], -v[4:5]
	v_add_f64 v[212:213], v[6:7], v[216:217]
	v_mul_f64 v[6:7], v[2:3], s[44:45]
	v_add_f64 v[208:209], v[4:5], v[220:221]
	v_fma_f64 v[4:5], v[0:1], s[46:47], v[6:7]
	v_fma_f64 v[8:9], v[0:1], s[48:49], v[6:7]
	v_add_f64 v[210:211], v[4:5], v[222:223]
	v_mul_f64 v[4:5], v[246:247], s[38:39]
	v_add_f64 v[214:215], v[8:9], v[218:219]
	v_fma_f64 v[6:7], v[250:251], s[40:41], v[4:5]
	v_fma_f64 v[4:5], v[250:251], s[40:41], -v[4:5]
	v_add_f64 v[216:217], v[6:7], v[224:225]
	v_mul_f64 v[6:7], v[2:3], s[40:41]
	v_add_f64 v[220:221], v[4:5], v[228:229]
	v_fma_f64 v[4:5], v[0:1], s[38:39], v[6:7]
	v_fma_f64 v[8:9], v[0:1], s[42:43], v[6:7]
	v_add_f64 v[222:223], v[4:5], v[230:231]
	;; [unrolled: 10-line block ×4, first 2 shown]
	v_mul_f64 v[4:5], v[246:247], s[20:21]
	v_add_f64 v[234:235], v[8:9], v[242:243]
	v_fma_f64 v[6:7], v[250:251], s[18:19], v[4:5]
	v_fma_f64 v[4:5], v[250:251], s[18:19], -v[4:5]
	v_add_f64 v[240:241], v[6:7], v[38:39]
	v_mul_f64 v[6:7], v[2:3], s[18:19]
	v_mul_f64 v[2:3], v[2:3], s[2:3]
	v_add_f64 v[4:5], v[4:5], v[34:35]
	v_fma_f64 v[8:9], v[0:1], s[22:23], v[6:7]
	v_fma_f64 v[6:7], v[0:1], s[20:21], v[6:7]
	v_add_f64 v[242:243], v[8:9], v[36:37]
	v_fma_f64 v[8:9], v[250:251], s[14:15], v[12:13]
	v_fma_f64 v[12:13], v[250:251], s[14:15], -v[12:13]
	v_add_f64 v[6:7], v[6:7], v[32:33]
	v_add_f64 v[8:9], v[8:9], v[30:31]
	;; [unrolled: 1-line block ×3, first 2 shown]
	v_mul_f64 v[20:21], v[246:247], s[0:1]
	v_fma_f64 v[16:17], v[250:251], s[2:3], v[20:21]
	v_fma_f64 v[20:21], v[250:251], s[2:3], -v[20:21]
	v_add_f64 v[16:17], v[16:17], v[18:19]
	v_fma_f64 v[18:19], v[0:1], s[8:9], v[2:3]
	v_fma_f64 v[0:1], v[0:1], s[0:1], v[2:3]
	v_add_f64 v[20:21], v[20:21], v[24:25]
	v_add_f64 v[18:19], v[18:19], v[26:27]
	;; [unrolled: 1-line block ×3, first 2 shown]
	s_clause 0x3
	buffer_load_dword v0, off, s[60:63], 0 offset:300
	buffer_load_dword v1, off, s[60:63], 0 offset:304
	buffer_load_dword v2, off, s[60:63], 0 offset:308
	buffer_load_dword v3, off, s[60:63], 0 offset:312
	s_waitcnt vmcnt(0)
	ds_write_b128 v249, v[0:3]
	ds_write_b128 v249, v[204:207] offset:16
	ds_write_b128 v249, v[212:215] offset:32
	;; [unrolled: 1-line block ×16, first 2 shown]
	s_waitcnt lgkmcnt(0)
	s_barrier
	buffer_gl0_inv
	ds_read_b128 v[196:199], v248
	ds_read_b128 v[0:3], v248 offset:1632
	ds_read_b128 v[4:7], v248 offset:3264
	;; [unrolled: 1-line block ×16, first 2 shown]
	s_waitcnt lgkmcnt(0)
	s_barrier
	buffer_gl0_inv
	v_mul_f64 v[28:29], v[106:107], v[2:3]
	v_fma_f64 v[28:29], v[104:105], v[0:1], v[28:29]
	v_mul_f64 v[0:1], v[106:107], v[0:1]
	v_fma_f64 v[30:31], v[104:105], v[2:3], -v[0:1]
	v_mul_f64 v[0:1], v[78:79], v[6:7]
	v_fma_f64 v[210:211], v[76:77], v[4:5], v[0:1]
	v_mul_f64 v[0:1], v[78:79], v[4:5]
	v_mul_f64 v[4:5], v[122:123], v[238:239]
	v_fma_f64 v[208:209], v[76:77], v[6:7], -v[0:1]
	v_mul_f64 v[0:1], v[74:75], v[10:11]
	v_mul_f64 v[6:7], v[102:103], v[249:250]
	v_fma_f64 v[206:207], v[72:73], v[8:9], v[0:1]
	v_mul_f64 v[0:1], v[74:75], v[8:9]
	v_add_f64 v[8:9], v[196:197], v[28:29]
	v_fma_f64 v[6:7], v[100:101], v[251:252], -v[6:7]
	v_fma_f64 v[204:205], v[72:73], v[10:11], -v[0:1]
	v_mul_f64 v[0:1], v[70:71], v[14:15]
	v_add_f64 v[10:11], v[198:199], v[30:31]
	v_add_f64 v[8:9], v[8:9], v[210:211]
	v_fma_f64 v[2:3], v[68:69], v[12:13], v[0:1]
	v_mul_f64 v[0:1], v[70:71], v[12:13]
	v_add_f64 v[10:11], v[10:11], v[208:209]
	v_add_f64 v[8:9], v[8:9], v[206:207]
	v_fma_f64 v[202:203], v[68:69], v[14:15], -v[0:1]
	v_mul_f64 v[0:1], v[114:115], v[18:19]
	v_add_f64 v[10:11], v[10:11], v[204:205]
	v_add_f64 v[8:9], v[8:9], v[2:3]
	v_fma_f64 v[200:201], v[112:113], v[16:17], v[0:1]
	v_mul_f64 v[0:1], v[114:115], v[16:17]
	v_add_f64 v[10:11], v[10:11], v[202:203]
	v_add_f64 v[8:9], v[8:9], v[200:201]
	v_fma_f64 v[112:113], v[112:113], v[18:19], -v[0:1]
	v_mul_f64 v[0:1], v[94:95], v[22:23]
	v_add_f64 v[10:11], v[10:11], v[112:113]
	v_fma_f64 v[104:105], v[92:93], v[20:21], v[0:1]
	v_mul_f64 v[0:1], v[94:95], v[20:21]
	v_add_f64 v[8:9], v[8:9], v[104:105]
	v_fma_f64 v[94:95], v[92:93], v[22:23], -v[0:1]
	v_mul_f64 v[0:1], v[86:87], v[26:27]
	v_add_f64 v[10:11], v[10:11], v[94:95]
	v_fma_f64 v[92:93], v[84:85], v[24:25], v[0:1]
	v_mul_f64 v[0:1], v[86:87], v[24:25]
	;; [unrolled: 6-line block ×5, first 2 shown]
	v_add_f64 v[124:125], v[72:73], v[74:75]
	v_add_f64 v[8:9], v[8:9], v[82:83]
	v_fma_f64 v[80:81], v[108:109], v[222:223], -v[0:1]
	v_mul_f64 v[0:1], v[98:99], v[226:227]
	v_fma_f64 v[108:109], v[120:121], v[236:237], v[4:5]
	v_mul_f64 v[4:5], v[122:123], v[236:237]
	v_add_f64 v[10:11], v[10:11], v[80:81]
	v_fma_f64 v[106:107], v[96:97], v[224:225], v[0:1]
	v_mul_f64 v[0:1], v[98:99], v[224:225]
	v_fma_f64 v[98:99], v[120:121], v[238:239], -v[4:5]
	v_mul_f64 v[4:5], v[118:119], v[242:243]
	v_add_f64 v[8:9], v[8:9], v[106:107]
	v_fma_f64 v[86:87], v[96:97], v[226:227], -v[0:1]
	v_mul_f64 v[0:1], v[90:91], v[230:231]
	v_fma_f64 v[114:115], v[116:117], v[240:241], v[4:5]
	v_mul_f64 v[4:5], v[118:119], v[240:241]
	v_add_f64 v[10:11], v[10:11], v[86:87]
	v_fma_f64 v[96:97], v[88:89], v[228:229], v[0:1]
	v_mul_f64 v[0:1], v[90:91], v[228:229]
	v_fma_f64 v[110:111], v[116:117], v[242:243], -v[4:5]
	v_mul_f64 v[4:5], v[102:103], v[251:252]
	v_add_f64 v[8:9], v[8:9], v[96:97]
	v_fma_f64 v[88:89], v[88:89], v[230:231], -v[0:1]
	v_mul_f64 v[0:1], v[130:131], v[234:235]
	v_fma_f64 v[4:5], v[100:101], v[249:250], v[4:5]
	v_add_f64 v[10:11], v[10:11], v[88:89]
	v_fma_f64 v[90:91], v[128:129], v[232:233], v[0:1]
	v_mul_f64 v[0:1], v[130:131], v[232:233]
	v_add_f64 v[8:9], v[8:9], v[90:91]
	v_fma_f64 v[0:1], v[128:129], v[234:235], -v[0:1]
	v_add_f64 v[8:9], v[8:9], v[108:109]
	v_add_f64 v[10:11], v[10:11], v[0:1]
	;; [unrolled: 1-line block ×7, first 2 shown]
	v_add_f64 v[4:5], v[28:29], -v[4:5]
	v_add_f64 v[70:71], v[10:11], v[6:7]
	v_add_f64 v[10:11], v[30:31], v[6:7]
	v_add_f64 v[6:7], v[30:31], -v[6:7]
	v_mul_f64 v[16:17], v[10:11], s[44:45]
	v_mul_f64 v[24:25], v[10:11], s[30:31]
	;; [unrolled: 1-line block ×16, first 2 shown]
	v_fma_f64 v[18:19], v[4:5], s[46:47], v[16:17]
	v_fma_f64 v[16:17], v[4:5], s[48:49], v[16:17]
	;; [unrolled: 1-line block ×16, first 2 shown]
	v_add_f64 v[10:11], v[208:209], v[110:111]
	v_add_f64 v[110:111], v[208:209], -v[110:111]
	v_fma_f64 v[14:15], v[8:9], s[44:45], v[12:13]
	v_fma_f64 v[12:13], v[8:9], s[44:45], -v[12:13]
	v_fma_f64 v[22:23], v[8:9], s[30:31], v[20:21]
	v_fma_f64 v[20:21], v[8:9], s[30:31], -v[20:21]
	;; [unrolled: 2-line block ×8, first 2 shown]
	v_add_f64 v[8:9], v[210:211], v[114:115]
	v_add_f64 v[114:115], v[210:211], -v[114:115]
	v_add_f64 v[16:17], v[198:199], v[16:17]
	v_add_f64 v[24:25], v[198:199], v[24:25]
	;; [unrolled: 1-line block ×3, first 2 shown]
	v_mul_f64 v[116:117], v[110:111], s[36:37]
	v_add_f64 v[14:15], v[196:197], v[14:15]
	v_add_f64 v[12:13], v[196:197], v[12:13]
	;; [unrolled: 1-line block ×21, first 2 shown]
	v_fma_f64 v[118:119], v[8:9], s[30:31], v[116:117]
	v_fma_f64 v[116:117], v[8:9], s[30:31], -v[116:117]
	v_add_f64 v[60:61], v[196:197], v[60:61]
	v_add_f64 v[64:65], v[198:199], v[64:65]
	;; [unrolled: 1-line block ×9, first 2 shown]
	v_mul_f64 v[118:119], v[10:11], s[30:31]
	v_add_f64 v[12:13], v[116:117], v[12:13]
	v_fma_f64 v[116:117], v[114:115], s[36:37], v[118:119]
	v_fma_f64 v[120:121], v[114:115], s[34:35], v[118:119]
	v_add_f64 v[16:17], v[116:117], v[16:17]
	v_mul_f64 v[116:117], v[110:111], s[8:9]
	v_add_f64 v[18:19], v[120:121], v[18:19]
	v_fma_f64 v[118:119], v[8:9], s[2:3], v[116:117]
	v_fma_f64 v[116:117], v[8:9], s[2:3], -v[116:117]
	v_add_f64 v[22:23], v[118:119], v[22:23]
	v_mul_f64 v[118:119], v[10:11], s[2:3]
	v_add_f64 v[20:21], v[116:117], v[20:21]
	v_fma_f64 v[116:117], v[114:115], s[8:9], v[118:119]
	v_fma_f64 v[120:121], v[114:115], s[0:1], v[118:119]
	v_add_f64 v[24:25], v[116:117], v[24:25]
	v_mul_f64 v[116:117], v[110:111], s[24:25]
	v_add_f64 v[26:27], v[120:121], v[26:27]
	v_fma_f64 v[118:119], v[8:9], s[26:27], v[116:117]
	v_fma_f64 v[116:117], v[8:9], s[26:27], -v[116:117]
	v_add_f64 v[30:31], v[118:119], v[30:31]
	;; [unrolled: 10-line block ×5, first 2 shown]
	v_mul_f64 v[118:119], v[10:11], s[14:15]
	v_add_f64 v[52:53], v[116:117], v[52:53]
	v_fma_f64 v[116:117], v[114:115], s[16:17], v[118:119]
	v_fma_f64 v[120:121], v[114:115], s[10:11], v[118:119]
	v_add_f64 v[56:57], v[116:117], v[56:57]
	v_mul_f64 v[116:117], v[110:111], s[20:21]
	v_mul_f64 v[110:111], v[110:111], s[46:47]
	v_add_f64 v[58:59], v[120:121], v[58:59]
	v_fma_f64 v[118:119], v[8:9], s[18:19], v[116:117]
	v_fma_f64 v[116:117], v[8:9], s[18:19], -v[116:117]
	v_add_f64 v[62:63], v[118:119], v[62:63]
	v_mul_f64 v[118:119], v[10:11], s[18:19]
	v_add_f64 v[60:61], v[116:117], v[60:61]
	v_mul_f64 v[10:11], v[10:11], s[44:45]
	v_fma_f64 v[116:117], v[114:115], s[20:21], v[118:119]
	v_fma_f64 v[120:121], v[114:115], s[22:23], v[118:119]
	v_add_f64 v[118:119], v[76:77], v[78:79]
	v_add_f64 v[64:65], v[116:117], v[64:65]
	v_fma_f64 v[116:117], v[8:9], s[44:45], v[110:111]
	v_fma_f64 v[8:9], v[8:9], s[44:45], -v[110:111]
	v_add_f64 v[66:67], v[120:121], v[66:67]
	v_add_f64 v[100:101], v[116:117], v[100:101]
	v_fma_f64 v[116:117], v[114:115], s[48:49], v[10:11]
	v_add_f64 v[6:7], v[8:9], v[6:7]
	v_fma_f64 v[8:9], v[114:115], s[46:47], v[10:11]
	v_add_f64 v[10:11], v[204:205], v[98:99]
	v_add_f64 v[98:99], v[204:205], -v[98:99]
	v_add_f64 v[102:103], v[116:117], v[102:103]
	v_add_f64 v[4:5], v[8:9], v[4:5]
	;; [unrolled: 1-line block ×3, first 2 shown]
	v_mul_f64 v[110:111], v[98:99], s[22:23]
	v_add_f64 v[108:109], v[206:207], -v[108:109]
	v_fma_f64 v[114:115], v[8:9], s[18:19], v[110:111]
	v_fma_f64 v[110:111], v[8:9], s[18:19], -v[110:111]
	v_add_f64 v[14:15], v[114:115], v[14:15]
	v_mul_f64 v[114:115], v[10:11], s[18:19]
	v_add_f64 v[12:13], v[110:111], v[12:13]
	v_fma_f64 v[110:111], v[108:109], s[22:23], v[114:115]
	v_fma_f64 v[116:117], v[108:109], s[20:21], v[114:115]
	v_add_f64 v[16:17], v[110:111], v[16:17]
	v_mul_f64 v[110:111], v[98:99], s[24:25]
	v_add_f64 v[18:19], v[116:117], v[18:19]
	v_fma_f64 v[114:115], v[8:9], s[26:27], v[110:111]
	v_fma_f64 v[110:111], v[8:9], s[26:27], -v[110:111]
	v_add_f64 v[22:23], v[114:115], v[22:23]
	v_mul_f64 v[114:115], v[10:11], s[26:27]
	v_add_f64 v[20:21], v[110:111], v[20:21]
	v_fma_f64 v[110:111], v[108:109], s[24:25], v[114:115]
	v_fma_f64 v[116:117], v[108:109], s[28:29], v[114:115]
	v_add_f64 v[24:25], v[110:111], v[24:25]
	v_mul_f64 v[110:111], v[98:99], s[54:55]
	v_add_f64 v[26:27], v[116:117], v[26:27]
	;; [unrolled: 10-line block ×5, first 2 shown]
	v_fma_f64 v[114:115], v[8:9], s[44:45], v[110:111]
	v_fma_f64 v[110:111], v[8:9], s[44:45], -v[110:111]
	v_add_f64 v[54:55], v[114:115], v[54:55]
	v_mul_f64 v[114:115], v[10:11], s[44:45]
	v_add_f64 v[52:53], v[110:111], v[52:53]
	v_fma_f64 v[110:111], v[108:109], s[48:49], v[114:115]
	v_fma_f64 v[116:117], v[108:109], s[46:47], v[114:115]
	v_add_f64 v[56:57], v[110:111], v[56:57]
	v_mul_f64 v[110:111], v[98:99], s[8:9]
	v_mul_f64 v[98:99], v[98:99], s[38:39]
	v_add_f64 v[58:59], v[116:117], v[58:59]
	v_fma_f64 v[114:115], v[8:9], s[2:3], v[110:111]
	v_fma_f64 v[110:111], v[8:9], s[2:3], -v[110:111]
	v_add_f64 v[62:63], v[114:115], v[62:63]
	v_mul_f64 v[114:115], v[10:11], s[2:3]
	v_add_f64 v[60:61], v[110:111], v[60:61]
	v_mul_f64 v[10:11], v[10:11], s[40:41]
	v_fma_f64 v[110:111], v[108:109], s[8:9], v[114:115]
	v_fma_f64 v[116:117], v[108:109], s[0:1], v[114:115]
	v_add_f64 v[64:65], v[110:111], v[64:65]
	v_fma_f64 v[110:111], v[8:9], s[40:41], v[98:99]
	v_fma_f64 v[8:9], v[8:9], s[40:41], -v[98:99]
	v_add_f64 v[66:67], v[116:117], v[66:67]
	v_add_f64 v[100:101], v[110:111], v[100:101]
	v_fma_f64 v[110:111], v[108:109], s[42:43], v[10:11]
	v_add_f64 v[6:7], v[8:9], v[6:7]
	v_fma_f64 v[8:9], v[108:109], s[38:39], v[10:11]
	v_add_f64 v[10:11], v[202:203], v[0:1]
	v_add_f64 v[0:1], v[202:203], -v[0:1]
	v_add_f64 v[202:203], v[72:73], -v[74:75]
	v_add_f64 v[102:103], v[110:111], v[102:103]
	v_add_f64 v[4:5], v[8:9], v[4:5]
	;; [unrolled: 1-line block ×3, first 2 shown]
	v_add_f64 v[2:3], v[2:3], -v[90:91]
	v_mul_f64 v[90:91], v[0:1], s[8:9]
	v_fma_f64 v[98:99], v[8:9], s[2:3], v[90:91]
	v_fma_f64 v[90:91], v[8:9], s[2:3], -v[90:91]
	v_add_f64 v[14:15], v[98:99], v[14:15]
	v_mul_f64 v[98:99], v[10:11], s[2:3]
	v_add_f64 v[12:13], v[90:91], v[12:13]
	v_fma_f64 v[90:91], v[2:3], s[8:9], v[98:99]
	v_fma_f64 v[108:109], v[2:3], s[0:1], v[98:99]
	v_add_f64 v[16:17], v[90:91], v[16:17]
	v_mul_f64 v[90:91], v[0:1], s[50:51]
	v_add_f64 v[18:19], v[108:109], v[18:19]
	v_fma_f64 v[98:99], v[8:9], s[52:53], v[90:91]
	v_fma_f64 v[90:91], v[8:9], s[52:53], -v[90:91]
	v_add_f64 v[22:23], v[98:99], v[22:23]
	v_mul_f64 v[98:99], v[10:11], s[52:53]
	v_add_f64 v[20:21], v[90:91], v[20:21]
	v_fma_f64 v[90:91], v[2:3], s[50:51], v[98:99]
	v_fma_f64 v[108:109], v[2:3], s[54:55], v[98:99]
	v_add_f64 v[24:25], v[90:91], v[24:25]
	v_mul_f64 v[90:91], v[0:1], s[16:17]
	v_add_f64 v[26:27], v[108:109], v[26:27]
	;; [unrolled: 10-line block ×5, first 2 shown]
	v_fma_f64 v[98:99], v[8:9], s[40:41], v[90:91]
	v_fma_f64 v[90:91], v[8:9], s[40:41], -v[90:91]
	v_add_f64 v[54:55], v[98:99], v[54:55]
	v_mul_f64 v[98:99], v[10:11], s[40:41]
	v_add_f64 v[52:53], v[90:91], v[52:53]
	v_fma_f64 v[90:91], v[2:3], s[38:39], v[98:99]
	v_fma_f64 v[108:109], v[2:3], s[42:43], v[98:99]
	v_add_f64 v[56:57], v[90:91], v[56:57]
	v_mul_f64 v[90:91], v[0:1], s[28:29]
	v_mul_f64 v[0:1], v[0:1], s[34:35]
	v_add_f64 v[58:59], v[108:109], v[58:59]
	v_fma_f64 v[98:99], v[8:9], s[26:27], v[90:91]
	v_fma_f64 v[90:91], v[8:9], s[26:27], -v[90:91]
	v_add_f64 v[62:63], v[98:99], v[62:63]
	v_mul_f64 v[98:99], v[10:11], s[26:27]
	v_add_f64 v[60:61], v[90:91], v[60:61]
	v_mul_f64 v[10:11], v[10:11], s[30:31]
	v_fma_f64 v[90:91], v[2:3], s[28:29], v[98:99]
	v_fma_f64 v[108:109], v[2:3], s[24:25], v[98:99]
	v_fma_f64 v[98:99], v[2:3], s[36:37], v[10:11]
	v_fma_f64 v[2:3], v[2:3], s[34:35], v[10:11]
	v_add_f64 v[10:11], v[112:113], -v[88:89]
	v_add_f64 v[64:65], v[90:91], v[64:65]
	v_fma_f64 v[90:91], v[8:9], s[30:31], v[0:1]
	v_fma_f64 v[0:1], v[8:9], s[30:31], -v[0:1]
	v_add_f64 v[2:3], v[2:3], v[4:5]
	v_add_f64 v[4:5], v[200:201], v[96:97]
	v_add_f64 v[8:9], v[200:201], -v[96:97]
	v_add_f64 v[66:67], v[108:109], v[66:67]
	v_add_f64 v[98:99], v[98:99], v[102:103]
	v_add_f64 v[90:91], v[90:91], v[100:101]
	v_add_f64 v[0:1], v[0:1], v[6:7]
	v_add_f64 v[6:7], v[112:113], v[88:89]
	v_mul_f64 v[88:89], v[10:11], s[10:11]
	v_fma_f64 v[96:97], v[4:5], s[14:15], v[88:89]
	v_fma_f64 v[88:89], v[4:5], s[14:15], -v[88:89]
	v_add_f64 v[14:15], v[96:97], v[14:15]
	v_mul_f64 v[96:97], v[6:7], s[14:15]
	v_add_f64 v[12:13], v[88:89], v[12:13]
	v_fma_f64 v[88:89], v[8:9], s[10:11], v[96:97]
	v_fma_f64 v[100:101], v[8:9], s[16:17], v[96:97]
	v_add_f64 v[16:17], v[88:89], v[16:17]
	v_mul_f64 v[88:89], v[10:11], s[42:43]
	v_add_f64 v[18:19], v[100:101], v[18:19]
	v_fma_f64 v[96:97], v[4:5], s[40:41], v[88:89]
	v_fma_f64 v[88:89], v[4:5], s[40:41], -v[88:89]
	v_add_f64 v[22:23], v[96:97], v[22:23]
	v_mul_f64 v[96:97], v[6:7], s[40:41]
	v_add_f64 v[20:21], v[88:89], v[20:21]
	v_fma_f64 v[88:89], v[8:9], s[42:43], v[96:97]
	v_fma_f64 v[100:101], v[8:9], s[38:39], v[96:97]
	v_add_f64 v[24:25], v[88:89], v[24:25]
	v_mul_f64 v[88:89], v[10:11], s[34:35]
	v_add_f64 v[26:27], v[100:101], v[26:27]
	;; [unrolled: 10-line block ×5, first 2 shown]
	v_fma_f64 v[96:97], v[4:5], s[2:3], v[88:89]
	v_fma_f64 v[88:89], v[4:5], s[2:3], -v[88:89]
	v_add_f64 v[54:55], v[96:97], v[54:55]
	v_mul_f64 v[96:97], v[6:7], s[2:3]
	v_add_f64 v[52:53], v[88:89], v[52:53]
	v_fma_f64 v[88:89], v[8:9], s[0:1], v[96:97]
	v_fma_f64 v[100:101], v[8:9], s[8:9], v[96:97]
	v_add_f64 v[56:57], v[88:89], v[56:57]
	v_mul_f64 v[88:89], v[10:11], s[48:49]
	v_mul_f64 v[10:11], v[10:11], s[24:25]
	v_add_f64 v[58:59], v[100:101], v[58:59]
	v_fma_f64 v[96:97], v[4:5], s[44:45], v[88:89]
	v_fma_f64 v[88:89], v[4:5], s[44:45], -v[88:89]
	v_add_f64 v[62:63], v[96:97], v[62:63]
	v_mul_f64 v[96:97], v[6:7], s[44:45]
	v_add_f64 v[60:61], v[88:89], v[60:61]
	v_mul_f64 v[6:7], v[6:7], s[26:27]
	v_fma_f64 v[88:89], v[8:9], s[48:49], v[96:97]
	v_fma_f64 v[100:101], v[8:9], s[46:47], v[96:97]
	v_add_f64 v[64:65], v[88:89], v[64:65]
	v_fma_f64 v[88:89], v[4:5], s[26:27], v[10:11]
	v_fma_f64 v[4:5], v[4:5], s[26:27], -v[10:11]
	v_add_f64 v[10:11], v[94:95], -v[86:87]
	v_add_f64 v[66:67], v[100:101], v[66:67]
	v_add_f64 v[88:89], v[88:89], v[90:91]
	;; [unrolled: 1-line block ×3, first 2 shown]
	v_fma_f64 v[4:5], v[8:9], s[24:25], v[6:7]
	v_fma_f64 v[90:91], v[8:9], s[28:29], v[6:7]
	v_add_f64 v[6:7], v[94:95], v[86:87]
	v_mul_f64 v[86:87], v[10:11], s[24:25]
	v_add_f64 v[8:9], v[104:105], -v[106:107]
	v_add_f64 v[2:3], v[4:5], v[2:3]
	v_add_f64 v[4:5], v[104:105], v[106:107]
	;; [unrolled: 1-line block ×3, first 2 shown]
	v_fma_f64 v[94:95], v[4:5], s[26:27], v[86:87]
	v_fma_f64 v[86:87], v[4:5], s[26:27], -v[86:87]
	v_add_f64 v[14:15], v[94:95], v[14:15]
	v_mul_f64 v[94:95], v[6:7], s[26:27]
	v_add_f64 v[12:13], v[86:87], v[12:13]
	v_fma_f64 v[86:87], v[8:9], s[24:25], v[94:95]
	v_fma_f64 v[96:97], v[8:9], s[28:29], v[94:95]
	v_add_f64 v[16:17], v[86:87], v[16:17]
	v_mul_f64 v[86:87], v[10:11], s[16:17]
	v_add_f64 v[18:19], v[96:97], v[18:19]
	v_fma_f64 v[94:95], v[4:5], s[14:15], v[86:87]
	v_fma_f64 v[86:87], v[4:5], s[14:15], -v[86:87]
	v_add_f64 v[22:23], v[94:95], v[22:23]
	v_mul_f64 v[94:95], v[6:7], s[14:15]
	v_add_f64 v[20:21], v[86:87], v[20:21]
	v_fma_f64 v[86:87], v[8:9], s[16:17], v[94:95]
	v_fma_f64 v[96:97], v[8:9], s[10:11], v[94:95]
	v_add_f64 v[24:25], v[86:87], v[24:25]
	v_mul_f64 v[86:87], v[10:11], s[48:49]
	v_add_f64 v[26:27], v[96:97], v[26:27]
	;; [unrolled: 10-line block ×5, first 2 shown]
	v_fma_f64 v[94:95], v[4:5], s[30:31], v[86:87]
	v_fma_f64 v[86:87], v[4:5], s[30:31], -v[86:87]
	v_add_f64 v[54:55], v[94:95], v[54:55]
	v_mul_f64 v[94:95], v[6:7], s[30:31]
	v_add_f64 v[52:53], v[86:87], v[52:53]
	v_fma_f64 v[86:87], v[8:9], s[36:37], v[94:95]
	v_fma_f64 v[96:97], v[8:9], s[34:35], v[94:95]
	v_add_f64 v[56:57], v[86:87], v[56:57]
	v_mul_f64 v[86:87], v[10:11], s[50:51]
	v_mul_f64 v[10:11], v[10:11], s[20:21]
	v_add_f64 v[58:59], v[96:97], v[58:59]
	v_fma_f64 v[94:95], v[4:5], s[52:53], v[86:87]
	v_fma_f64 v[86:87], v[4:5], s[52:53], -v[86:87]
	v_add_f64 v[62:63], v[94:95], v[62:63]
	v_mul_f64 v[94:95], v[6:7], s[52:53]
	v_add_f64 v[60:61], v[86:87], v[60:61]
	v_mul_f64 v[6:7], v[6:7], s[18:19]
	v_fma_f64 v[86:87], v[8:9], s[50:51], v[94:95]
	v_fma_f64 v[96:97], v[8:9], s[54:55], v[94:95]
	v_add_f64 v[64:65], v[86:87], v[64:65]
	v_fma_f64 v[86:87], v[4:5], s[18:19], v[10:11]
	v_fma_f64 v[4:5], v[4:5], s[18:19], -v[10:11]
	v_add_f64 v[10:11], v[84:85], -v[80:81]
	v_add_f64 v[66:67], v[96:97], v[66:67]
	v_add_f64 v[94:95], v[86:87], v[88:89]
	v_add_f64 v[0:1], v[4:5], v[0:1]
	v_fma_f64 v[4:5], v[8:9], s[20:21], v[6:7]
	v_fma_f64 v[86:87], v[8:9], s[22:23], v[6:7]
	v_add_f64 v[6:7], v[84:85], v[80:81]
	v_mul_f64 v[80:81], v[10:11], s[38:39]
	v_add_f64 v[8:9], v[92:93], -v[82:83]
	v_add_f64 v[2:3], v[4:5], v[2:3]
	v_add_f64 v[4:5], v[92:93], v[82:83]
	;; [unrolled: 1-line block ×3, first 2 shown]
	v_fma_f64 v[82:83], v[4:5], s[40:41], v[80:81]
	v_fma_f64 v[80:81], v[4:5], s[40:41], -v[80:81]
	v_add_f64 v[14:15], v[82:83], v[14:15]
	v_mul_f64 v[82:83], v[6:7], s[40:41]
	v_add_f64 v[12:13], v[80:81], v[12:13]
	v_fma_f64 v[80:81], v[8:9], s[38:39], v[82:83]
	v_fma_f64 v[84:85], v[8:9], s[42:43], v[82:83]
	v_add_f64 v[16:17], v[80:81], v[16:17]
	v_mul_f64 v[80:81], v[10:11], s[20:21]
	v_add_f64 v[18:19], v[84:85], v[18:19]
	v_fma_f64 v[82:83], v[4:5], s[18:19], v[80:81]
	v_fma_f64 v[80:81], v[4:5], s[18:19], -v[80:81]
	v_add_f64 v[22:23], v[82:83], v[22:23]
	v_mul_f64 v[82:83], v[6:7], s[18:19]
	v_add_f64 v[206:207], v[80:81], v[20:21]
	v_fma_f64 v[20:21], v[8:9], s[20:21], v[82:83]
	v_fma_f64 v[84:85], v[8:9], s[22:23], v[82:83]
	v_add_f64 v[204:205], v[20:21], v[24:25]
	v_mul_f64 v[20:21], v[10:11], s[8:9]
	v_add_f64 v[26:27], v[84:85], v[26:27]
	;; [unrolled: 10-line block ×5, first 2 shown]
	v_fma_f64 v[24:25], v[4:5], s[52:53], v[20:21]
	v_fma_f64 v[20:21], v[4:5], s[52:53], -v[20:21]
	v_add_f64 v[112:113], v[24:25], v[54:55]
	v_mul_f64 v[24:25], v[6:7], s[52:53]
	v_add_f64 v[200:201], v[20:21], v[52:53]
	v_fma_f64 v[20:21], v[8:9], s[50:51], v[24:25]
	v_fma_f64 v[28:29], v[8:9], s[54:55], v[24:25]
	v_add_f64 v[198:199], v[20:21], v[56:57]
	v_mul_f64 v[20:21], v[10:11], s[34:35]
	v_mul_f64 v[10:11], v[10:11], s[10:11]
	v_add_f64 v[114:115], v[28:29], v[58:59]
	v_fma_f64 v[24:25], v[4:5], s[30:31], v[20:21]
	v_fma_f64 v[20:21], v[4:5], s[30:31], -v[20:21]
	v_add_f64 v[196:197], v[24:25], v[62:63]
	v_mul_f64 v[24:25], v[6:7], s[30:31]
	v_add_f64 v[128:129], v[20:21], v[60:61]
	v_mul_f64 v[6:7], v[6:7], s[14:15]
	v_fma_f64 v[20:21], v[8:9], s[34:35], v[24:25]
	v_fma_f64 v[28:29], v[8:9], s[36:37], v[24:25]
	v_add_f64 v[126:127], v[20:21], v[64:65]
	v_fma_f64 v[20:21], v[4:5], s[14:15], v[10:11]
	v_fma_f64 v[4:5], v[4:5], s[14:15], -v[10:11]
	v_add_f64 v[130:131], v[28:29], v[66:67]
	v_add_f64 v[122:123], v[20:21], v[94:95]
	;; [unrolled: 1-line block ×3, first 2 shown]
	v_mul_f64 v[4:5], v[202:203], s[50:51]
	v_fma_f64 v[20:21], v[8:9], s[16:17], v[6:7]
	v_fma_f64 v[0:1], v[8:9], s[10:11], v[6:7]
	;; [unrolled: 1-line block ×3, first 2 shown]
	v_fma_f64 v[4:5], v[118:119], s[52:53], -v[4:5]
	v_add_f64 v[0:1], v[0:1], v[2:3]
	v_add_f64 v[2:3], v[76:77], -v[78:79]
	v_add_f64 v[120:121], v[20:21], v[96:97]
	v_mul_f64 v[20:21], v[202:203], s[0:1]
	v_add_f64 v[92:93], v[6:7], v[14:15]
	v_mul_f64 v[6:7], v[124:125], s[52:53]
	;; [unrolled: 2-line block ×3, first 2 shown]
	v_mul_f64 v[14:15], v[124:125], s[14:15]
	v_fma_f64 v[4:5], v[2:3], s[50:51], v[6:7]
	v_fma_f64 v[8:9], v[2:3], s[54:55], v[6:7]
	;; [unrolled: 1-line block ×4, first 2 shown]
	v_add_f64 v[74:75], v[4:5], v[16:17]
	v_mul_f64 v[4:5], v[202:203], s[46:47]
	v_add_f64 v[94:95], v[8:9], v[18:19]
	v_fma_f64 v[16:17], v[118:119], s[2:3], v[20:21]
	v_fma_f64 v[20:21], v[118:119], s[2:3], -v[20:21]
	v_add_f64 v[10:11], v[10:11], v[130:131]
	v_add_f64 v[14:15], v[14:15], v[126:127]
	v_fma_f64 v[6:7], v[118:119], s[44:45], v[4:5]
	v_fma_f64 v[4:5], v[118:119], s[44:45], -v[4:5]
	v_add_f64 v[16:17], v[16:17], v[122:123]
	v_add_f64 v[20:21], v[20:21], v[116:117]
	;; [unrolled: 1-line block ×3, first 2 shown]
	v_mul_f64 v[6:7], v[124:125], s[44:45]
	v_add_f64 v[76:77], v[4:5], v[206:207]
	v_mul_f64 v[22:23], v[124:125], s[2:3]
	v_fma_f64 v[4:5], v[2:3], s[46:47], v[6:7]
	v_fma_f64 v[8:9], v[2:3], s[48:49], v[6:7]
	v_fma_f64 v[18:19], v[2:3], s[8:9], v[22:23]
	v_add_f64 v[78:79], v[4:5], v[204:205]
	v_mul_f64 v[4:5], v[202:203], s[38:39]
	v_add_f64 v[98:99], v[8:9], v[26:27]
	v_add_f64 v[18:19], v[18:19], v[120:121]
	v_fma_f64 v[6:7], v[118:119], s[40:41], v[4:5]
	v_fma_f64 v[4:5], v[118:119], s[40:41], -v[4:5]
	v_add_f64 v[100:101], v[6:7], v[100:101]
	v_mul_f64 v[6:7], v[124:125], s[40:41]
	v_add_f64 v[80:81], v[4:5], v[80:81]
	v_fma_f64 v[4:5], v[2:3], s[38:39], v[6:7]
	v_fma_f64 v[8:9], v[2:3], s[42:43], v[6:7]
	v_add_f64 v[82:83], v[4:5], v[82:83]
	v_mul_f64 v[4:5], v[202:203], s[34:35]
	v_add_f64 v[102:103], v[8:9], v[102:103]
	v_fma_f64 v[6:7], v[118:119], s[30:31], v[4:5]
	v_fma_f64 v[4:5], v[118:119], s[30:31], -v[4:5]
	v_add_f64 v[104:105], v[6:7], v[104:105]
	v_mul_f64 v[6:7], v[124:125], s[30:31]
	v_add_f64 v[84:85], v[4:5], v[84:85]
	v_fma_f64 v[4:5], v[2:3], s[34:35], v[6:7]
	v_fma_f64 v[8:9], v[2:3], s[36:37], v[6:7]
	v_add_f64 v[86:87], v[4:5], v[86:87]
	v_mul_f64 v[4:5], v[202:203], s[24:25]
	;; [unrolled: 10-line block ×3, first 2 shown]
	v_add_f64 v[110:111], v[8:9], v[110:111]
	v_fma_f64 v[6:7], v[118:119], s[18:19], v[4:5]
	v_fma_f64 v[4:5], v[118:119], s[18:19], -v[4:5]
	v_add_f64 v[112:113], v[6:7], v[112:113]
	v_mul_f64 v[6:7], v[124:125], s[18:19]
	v_add_f64 v[4:5], v[4:5], v[200:201]
	v_fma_f64 v[8:9], v[2:3], s[22:23], v[6:7]
	v_fma_f64 v[6:7], v[2:3], s[20:21], v[6:7]
	;; [unrolled: 1-line block ×3, first 2 shown]
	v_add_f64 v[114:115], v[8:9], v[114:115]
	v_fma_f64 v[8:9], v[118:119], s[14:15], v[12:13]
	v_fma_f64 v[12:13], v[118:119], s[14:15], -v[12:13]
	v_add_f64 v[22:23], v[2:3], v[0:1]
	v_add_f64 v[6:7], v[6:7], v[198:199]
	;; [unrolled: 1-line block ×4, first 2 shown]
	ds_write_b128 v244, v[68:71]
	ds_write_b128 v244, v[92:95] offset:272
	ds_write_b128 v244, v[96:99] offset:544
	;; [unrolled: 1-line block ×16, first 2 shown]
	s_waitcnt lgkmcnt(0)
	s_barrier
	buffer_gl0_inv
	ds_read_b128 v[68:71], v248
	ds_read_b128 v[96:99], v248 offset:4624
	ds_read_b128 v[100:103], v248 offset:9248
	;; [unrolled: 1-line block ×11, first 2 shown]
	s_and_saveexec_b32 s0, vcc_lo
	s_cbranch_execz .LBB0_7
; %bb.6:
	ds_read_b128 v[88:91], v248 offset:3264
	ds_read_b128 v[84:87], v248 offset:7888
	;; [unrolled: 1-line block ×6, first 2 shown]
	s_waitcnt lgkmcnt(0)
	buffer_store_dword v0, off, s[60:63], 0 offset:4 ; 4-byte Folded Spill
	buffer_store_dword v1, off, s[60:63], 0 offset:8 ; 4-byte Folded Spill
	;; [unrolled: 1-line block ×4, first 2 shown]
.LBB0_7:
	s_or_b32 exec_lo, exec_lo, s0
	s_waitcnt lgkmcnt(8)
	v_mul_f64 v[0:1], v[134:135], v[128:129]
	s_waitcnt lgkmcnt(6)
	v_mul_f64 v[2:3], v[182:183], v[196:197]
	;; [unrolled: 2-line block ×4, first 2 shown]
	v_mul_f64 v[8:9], v[170:171], v[96:97]
	v_mul_f64 v[10:11], v[134:135], v[130:131]
	;; [unrolled: 1-line block ×16, first 2 shown]
	s_mov_b32 s0, 0xe8584caa
	s_mov_b32 s1, 0xbfebb67a
	v_fma_f64 v[0:1], v[132:133], v[130:131], -v[0:1]
	v_fma_f64 v[2:3], v[180:181], v[198:199], -v[2:3]
	;; [unrolled: 1-line block ×5, first 2 shown]
	v_fma_f64 v[10:11], v[132:133], v[128:129], v[10:11]
	v_fma_f64 v[12:13], v[180:181], v[196:197], v[12:13]
	v_fma_f64 v[14:15], v[164:165], v[110:111], -v[14:15]
	v_fma_f64 v[16:17], v[176:177], v[120:121], v[16:17]
	v_fma_f64 v[18:19], v[184:185], v[124:125], v[18:19]
	;; [unrolled: 1-line block ×3, first 2 shown]
	v_fma_f64 v[22:23], v[152:153], v[102:103], -v[22:23]
	v_fma_f64 v[24:25], v[172:173], v[104:105], v[24:25]
	v_fma_f64 v[26:27], v[172:173], v[106:107], -v[26:27]
	v_fma_f64 v[28:29], v[168:169], v[96:97], v[28:29]
	v_fma_f64 v[30:31], v[164:165], v[108:109], v[30:31]
	;; [unrolled: 1-line block ×3, first 2 shown]
	v_fma_f64 v[36:37], v[156:157], v[114:115], -v[36:37]
	v_fma_f64 v[38:39], v[160:161], v[116:117], v[38:39]
	v_fma_f64 v[40:41], v[160:161], v[118:119], -v[40:41]
	s_mov_b32 s3, 0x3febb67a
	s_mov_b32 s2, s0
	v_add_f64 v[32:33], v[0:1], v[2:3]
	v_add_f64 v[60:61], v[0:1], -v[2:3]
	v_add_f64 v[42:43], v[4:5], v[6:7]
	v_add_f64 v[64:65], v[4:5], -v[6:7]
	v_add_f64 v[0:1], v[8:9], v[0:1]
	v_add_f64 v[44:45], v[10:11], v[12:13]
	v_add_f64 v[46:47], v[10:11], -v[12:13]
	v_add_f64 v[4:5], v[14:15], v[4:5]
	v_add_f64 v[48:49], v[16:17], v[18:19]
	v_add_f64 v[50:51], v[16:17], -v[18:19]
	v_add_f64 v[52:53], v[68:69], v[20:21]
	v_add_f64 v[54:55], v[20:21], v[24:25]
	v_add_f64 v[56:57], v[22:23], -v[26:27]
	v_add_f64 v[58:59], v[70:71], v[22:23]
	v_add_f64 v[22:23], v[22:23], v[26:27]
	v_add_f64 v[10:11], v[28:29], v[10:11]
	;; [unrolled: 1-line block ×3, first 2 shown]
	v_add_f64 v[20:21], v[20:21], -v[24:25]
	v_add_f64 v[66:67], v[36:37], -v[40:41]
	v_fma_f64 v[32:33], v[32:33], -0.5, v[8:9]
	v_fma_f64 v[42:43], v[42:43], -0.5, v[14:15]
	;; [unrolled: 1-line block ×3, first 2 shown]
	v_add_f64 v[28:29], v[34:35], v[38:39]
	v_fma_f64 v[48:49], v[48:49], -0.5, v[30:31]
	v_add_f64 v[14:15], v[52:53], v[24:25]
	v_fma_f64 v[24:25], v[54:55], -0.5, v[68:69]
	v_add_f64 v[26:27], v[58:59], v[26:27]
	v_fma_f64 v[22:23], v[22:23], -0.5, v[70:71]
	v_add_f64 v[10:11], v[10:11], v[12:13]
	v_add_f64 v[12:13], v[0:1], v[2:3]
	;; [unrolled: 1-line block ×4, first 2 shown]
	v_fma_f64 v[62:63], v[46:47], s[2:3], v[32:33]
	v_fma_f64 v[32:33], v[46:47], s[0:1], v[32:33]
	v_add_f64 v[46:47], v[36:37], v[40:41]
	v_fma_f64 v[8:9], v[50:51], s[2:3], v[42:43]
	v_fma_f64 v[42:43], v[50:51], s[0:1], v[42:43]
	v_add_f64 v[50:51], v[92:93], v[34:35]
	v_add_f64 v[36:37], v[94:95], v[36:37]
	v_fma_f64 v[30:31], v[60:61], s[0:1], v[44:45]
	v_fma_f64 v[44:45], v[60:61], s[2:3], v[44:45]
	v_add_f64 v[34:35], v[34:35], -v[38:39]
	v_fma_f64 v[28:29], v[28:29], -0.5, v[92:93]
	v_fma_f64 v[60:61], v[64:65], s[0:1], v[48:49]
	v_fma_f64 v[48:49], v[64:65], s[2:3], v[48:49]
	v_fma_f64 v[70:71], v[20:21], s[0:1], v[22:23]
	v_add_f64 v[0:1], v[14:15], v[10:11]
	v_add_f64 v[2:3], v[26:27], v[12:13]
	v_add_f64 v[4:5], v[14:15], -v[10:11]
	v_add_f64 v[6:7], v[26:27], -v[12:13]
	v_mul_f64 v[52:53], v[62:63], s[0:1]
	v_mul_f64 v[58:59], v[62:63], 0.5
	v_mul_f64 v[54:55], v[32:33], s[0:1]
	v_mul_f64 v[32:33], v[32:33], -0.5
	v_fma_f64 v[46:47], v[46:47], -0.5, v[94:95]
	v_mul_f64 v[62:63], v[8:9], s[0:1]
	v_mul_f64 v[8:9], v[8:9], 0.5
	v_mul_f64 v[64:65], v[42:43], s[0:1]
	v_mul_f64 v[42:43], v[42:43], -0.5
	v_add_f64 v[38:39], v[50:51], v[38:39]
	v_add_f64 v[36:37], v[36:37], v[40:41]
	v_fma_f64 v[40:41], v[56:57], s[0:1], v[24:25]
	v_fma_f64 v[50:51], v[56:57], s[2:3], v[24:25]
	;; [unrolled: 1-line block ×3, first 2 shown]
	v_fma_f64 v[24:25], v[30:31], 0.5, v[52:53]
	v_fma_f64 v[30:31], v[30:31], s[2:3], v[58:59]
	v_fma_f64 v[52:53], v[44:45], -0.5, v[54:55]
	v_fma_f64 v[32:33], v[44:45], s[2:3], v[32:33]
	v_fma_f64 v[44:45], v[66:67], s[0:1], v[28:29]
	;; [unrolled: 1-line block ×4, first 2 shown]
	v_fma_f64 v[46:47], v[60:61], 0.5, v[62:63]
	v_fma_f64 v[60:61], v[60:61], s[2:3], v[8:9]
	v_fma_f64 v[28:29], v[66:67], s[2:3], v[28:29]
	v_fma_f64 v[58:59], v[48:49], -0.5, v[64:65]
	v_fma_f64 v[42:43], v[48:49], s[2:3], v[42:43]
	v_add_f64 v[8:9], v[38:39], v[16:17]
	v_add_f64 v[10:11], v[36:37], v[18:19]
	v_add_f64 v[12:13], v[38:39], -v[16:17]
	v_add_f64 v[14:15], v[36:37], -v[18:19]
	v_add_f64 v[16:17], v[40:41], v[24:25]
	v_add_f64 v[18:19], v[56:57], v[30:31]
	;; [unrolled: 1-line block ×4, first 2 shown]
	v_add_f64 v[24:25], v[40:41], -v[24:25]
	v_add_f64 v[26:27], v[56:57], -v[30:31]
	v_add_f64 v[68:69], v[50:51], -v[52:53]
	v_add_f64 v[70:71], v[70:71], -v[32:33]
	v_add_f64 v[92:93], v[44:45], v[46:47]
	v_add_f64 v[94:95], v[54:55], v[60:61]
	v_add_f64 v[96:97], v[28:29], v[58:59]
	v_add_f64 v[98:99], v[34:35], v[42:43]
	v_add_f64 v[100:101], v[44:45], -v[46:47]
	v_add_f64 v[102:103], v[54:55], -v[60:61]
	;; [unrolled: 1-line block ×4, first 2 shown]
	ds_write_b128 v248, v[0:3]
	ds_write_b128 v248, v[4:7] offset:13872
	ds_write_b128 v248, v[8:11] offset:1632
	;; [unrolled: 1-line block ×11, first 2 shown]
	s_and_saveexec_b32 s8, vcc_lo
	s_cbranch_execz .LBB0_9
; %bb.8:
	s_clause 0x3
	buffer_load_dword v16, off, s[60:63], 0 offset:4
	buffer_load_dword v17, off, s[60:63], 0 offset:8
	;; [unrolled: 1-line block ×4, first 2 shown]
	v_mul_f64 v[0:1], v[138:139], v[76:77]
	v_mul_f64 v[4:5], v[138:139], v[78:79]
	;; [unrolled: 1-line block ×7, first 2 shown]
	v_fma_f64 v[0:1], v[136:137], v[78:79], -v[0:1]
	v_fma_f64 v[4:5], v[136:137], v[76:77], v[4:5]
	v_fma_f64 v[8:9], v[144:145], v[86:87], -v[8:9]
	v_fma_f64 v[10:11], v[140:141], v[82:83], -v[10:11]
	;; [unrolled: 1-line block ×3, first 2 shown]
	v_fma_f64 v[14:15], v[144:145], v[84:85], v[14:15]
	v_fma_f64 v[20:21], v[188:189], v[72:73], v[20:21]
	v_add_f64 v[34:35], v[90:91], v[10:11]
	v_add_f64 v[26:27], v[10:11], v[12:13]
	s_waitcnt vmcnt(2)
	v_mul_f64 v[2:3], v[150:151], v[16:17]
	s_waitcnt vmcnt(0)
	v_mul_f64 v[6:7], v[150:151], v[18:19]
	v_fma_f64 v[2:3], v[148:149], v[18:19], -v[2:3]
	v_fma_f64 v[6:7], v[148:149], v[16:17], v[6:7]
	v_mul_f64 v[18:19], v[142:143], v[82:83]
	v_add_f64 v[16:17], v[0:1], v[2:3]
	v_add_f64 v[22:23], v[4:5], v[6:7]
	v_add_f64 v[24:25], v[4:5], -v[6:7]
	v_fma_f64 v[18:19], v[140:141], v[80:81], v[18:19]
	v_add_f64 v[28:29], v[0:1], -v[2:3]
	v_add_f64 v[0:1], v[8:9], v[0:1]
	v_add_f64 v[4:5], v[14:15], v[4:5]
	v_fma_f64 v[16:17], v[16:17], -0.5, v[8:9]
	v_fma_f64 v[22:23], v[22:23], -0.5, v[14:15]
	v_add_f64 v[8:9], v[10:11], -v[12:13]
	v_add_f64 v[10:11], v[88:89], v[18:19]
	v_add_f64 v[32:33], v[18:19], -v[20:21]
	v_fma_f64 v[14:15], v[26:27], -0.5, v[90:91]
	v_add_f64 v[12:13], v[34:35], v[12:13]
	v_add_f64 v[34:35], v[0:1], v[2:3]
	;; [unrolled: 1-line block ×3, first 2 shown]
	v_fma_f64 v[30:31], v[24:25], s[0:1], v[16:17]
	v_fma_f64 v[16:17], v[24:25], s[2:3], v[16:17]
	v_add_f64 v[24:25], v[18:19], v[20:21]
	v_fma_f64 v[18:19], v[28:29], s[2:3], v[22:23]
	v_fma_f64 v[22:23], v[28:29], s[0:1], v[22:23]
	v_add_f64 v[10:11], v[10:11], v[20:21]
	v_fma_f64 v[20:21], v[32:33], s[0:1], v[14:15]
	v_fma_f64 v[32:33], v[32:33], s[2:3], v[14:15]
	v_add_f64 v[6:7], v[12:13], v[34:35]
	v_add_f64 v[2:3], v[12:13], -v[34:35]
	v_mul_f64 v[26:27], v[30:31], -0.5
	v_mul_f64 v[28:29], v[16:17], 0.5
	v_fma_f64 v[24:25], v[24:25], -0.5, v[88:89]
	v_mul_f64 v[16:17], v[16:17], s[0:1]
	v_mul_f64 v[30:31], v[30:31], s[0:1]
	v_add_f64 v[0:1], v[10:11], -v[4:5]
	v_add_f64 v[4:5], v[10:11], v[4:5]
	v_fma_f64 v[26:27], v[18:19], s[2:3], v[26:27]
	v_fma_f64 v[28:29], v[22:23], s[2:3], v[28:29]
	;; [unrolled: 1-line block ×4, first 2 shown]
	v_fma_f64 v[24:25], v[22:23], 0.5, v[16:17]
	v_fma_f64 v[30:31], v[18:19], -0.5, v[30:31]
	v_add_f64 v[10:11], v[20:21], -v[26:27]
	v_add_f64 v[18:19], v[20:21], v[26:27]
	v_add_f64 v[22:23], v[32:33], v[28:29]
	v_add_f64 v[14:15], v[32:33], -v[28:29]
	v_add_f64 v[20:21], v[8:9], v[24:25]
	v_add_f64 v[16:17], v[36:37], v[30:31]
	v_add_f64 v[12:13], v[8:9], -v[24:25]
	v_add_f64 v[8:9], v[36:37], -v[30:31]
	ds_write_b128 v248, v[4:7] offset:3264
	ds_write_b128 v248, v[0:3] offset:17136
	;; [unrolled: 1-line block ×6, first 2 shown]
.LBB0_9:
	s_or_b32 exec_lo, exec_lo, s8
	s_waitcnt lgkmcnt(0)
	s_waitcnt_vscnt null, 0x0
	s_barrier
	buffer_gl0_inv
	ds_read_b128 v[0:3], v248
	ds_read_b128 v[4:7], v248 offset:1632
	ds_read_b128 v[8:11], v248 offset:3264
	s_clause 0x2
	buffer_load_dword v12, off, s[60:63], 0 offset:20
	buffer_load_dword v13, off, s[60:63], 0 offset:24
	buffer_load_dword v46, off, s[60:63], 0
	s_mov_b32 s0, 0x8b5e3104
	s_mov_b32 s1, 0x3f42e5b8
	s_mul_i32 s3, s5, 0x660
	s_mul_i32 s2, s4, 0x660
	ds_read_b128 v[16:19], v248 offset:6528
	s_waitcnt vmcnt(2)
	v_mov_b32_e32 v44, v12
	s_waitcnt vmcnt(1)
	ds_read_b128 v[12:15], v248 offset:4896
	s_clause 0x3
	buffer_load_dword v54, off, s[60:63], 0 offset:28
	buffer_load_dword v55, off, s[60:63], 0 offset:32
	;; [unrolled: 1-line block ×4, first 2 shown]
	s_waitcnt vmcnt(4)
	v_mad_u64_u32 v[30:31], null, s4, v46, 0
	v_mad_u64_u32 v[28:29], null, s6, v44, 0
	s_mul_hi_u32 s6, s4, 0x660
	s_add_i32 s3, s6, s3
	v_mad_u64_u32 v[44:45], null, s7, v44, v[29:30]
	v_mov_b32_e32 v29, v44
	v_lshlrev_b64 v[28:29], 4, v[28:29]
	s_waitcnt vmcnt(0) lgkmcnt(4)
	v_mul_f64 v[32:33], v[56:57], v[2:3]
	v_mul_f64 v[34:35], v[56:57], v[0:1]
	s_clause 0x3
	buffer_load_dword v56, off, s[60:63], 0 offset:44
	buffer_load_dword v57, off, s[60:63], 0 offset:48
	;; [unrolled: 1-line block ×4, first 2 shown]
	v_mad_u64_u32 v[45:46], null, s5, v46, v[31:32]
	v_fma_f64 v[0:1], v[54:55], v[0:1], v[32:33]
	v_fma_f64 v[2:3], v[54:55], v[2:3], -v[34:35]
	v_mov_b32_e32 v31, v45
	v_lshlrev_b64 v[30:31], 4, v[30:31]
	v_mul_f64 v[0:1], v[0:1], s[0:1]
	v_mul_f64 v[2:3], v[2:3], s[0:1]
	s_waitcnt vmcnt(0) lgkmcnt(3)
	v_mul_f64 v[36:37], v[58:59], v[6:7]
	v_mul_f64 v[38:39], v[58:59], v[4:5]
	s_clause 0x3
	buffer_load_dword v58, off, s[60:63], 0 offset:60
	buffer_load_dword v59, off, s[60:63], 0 offset:64
	;; [unrolled: 1-line block ×4, first 2 shown]
	ds_read_b128 v[20:23], v248 offset:8160
	ds_read_b128 v[24:27], v248 offset:9792
	;; [unrolled: 1-line block ×4, first 2 shown]
	v_fma_f64 v[4:5], v[56:57], v[4:5], v[36:37]
	v_fma_f64 v[6:7], v[56:57], v[6:7], -v[38:39]
	v_mul_f64 v[4:5], v[4:5], s[0:1]
	v_mul_f64 v[6:7], v[6:7], s[0:1]
	s_waitcnt vmcnt(0) lgkmcnt(6)
	v_mul_f64 v[40:41], v[60:61], v[10:11]
	v_mul_f64 v[42:43], v[60:61], v[8:9]
	s_clause 0x3
	buffer_load_dword v60, off, s[60:63], 0 offset:76
	buffer_load_dword v61, off, s[60:63], 0 offset:80
	;; [unrolled: 1-line block ×4, first 2 shown]
	v_fma_f64 v[8:9], v[58:59], v[8:9], v[40:41]
	v_fma_f64 v[10:11], v[58:59], v[10:11], -v[42:43]
	v_add_co_u32 v40, vcc_lo, s12, v28
	v_add_co_ci_u32_e32 v41, vcc_lo, s13, v29, vcc_lo
	v_add_co_u32 v30, vcc_lo, v40, v30
	v_add_co_ci_u32_e32 v31, vcc_lo, v41, v31, vcc_lo
	;; [unrolled: 2-line block ×3, first 2 shown]
	v_mul_f64 v[8:9], v[8:9], s[0:1]
	v_mul_f64 v[10:11], v[10:11], s[0:1]
	s_waitcnt vmcnt(0) lgkmcnt(4)
	v_mul_f64 v[46:47], v[62:63], v[14:15]
	v_mul_f64 v[48:49], v[62:63], v[12:13]
	s_clause 0x7
	buffer_load_dword v62, off, s[60:63], 0 offset:92
	buffer_load_dword v63, off, s[60:63], 0 offset:96
	buffer_load_dword v64, off, s[60:63], 0 offset:100
	buffer_load_dword v65, off, s[60:63], 0 offset:104
	buffer_load_dword v54, off, s[60:63], 0 offset:108
	buffer_load_dword v55, off, s[60:63], 0 offset:112
	buffer_load_dword v56, off, s[60:63], 0 offset:116
	buffer_load_dword v57, off, s[60:63], 0 offset:120
	v_fma_f64 v[12:13], v[60:61], v[12:13], v[46:47]
	v_fma_f64 v[14:15], v[60:61], v[14:15], -v[48:49]
	s_waitcnt vmcnt(4)
	v_mul_f64 v[50:51], v[64:65], v[18:19]
	s_waitcnt vmcnt(0) lgkmcnt(3)
	v_mul_f64 v[32:33], v[56:57], v[22:23]
	v_mul_f64 v[34:35], v[56:57], v[20:21]
	s_clause 0x3
	buffer_load_dword v56, off, s[60:63], 0 offset:156
	buffer_load_dword v57, off, s[60:63], 0 offset:160
	;; [unrolled: 1-line block ×4, first 2 shown]
	v_mul_f64 v[52:53], v[64:65], v[16:17]
	s_clause 0x3
	buffer_load_dword v64, off, s[60:63], 0 offset:172
	buffer_load_dword v65, off, s[60:63], 0 offset:176
	;; [unrolled: 1-line block ×4, first 2 shown]
	v_fma_f64 v[16:17], v[62:63], v[16:17], v[50:51]
	v_fma_f64 v[20:21], v[54:55], v[20:21], v[32:33]
	v_add_co_u32 v32, vcc_lo, v42, s2
	v_add_co_ci_u32_e32 v33, vcc_lo, s3, v43, vcc_lo
	global_store_dwordx4 v[30:31], v[0:3], off
	global_store_dwordx4 v[42:43], v[4:7], off
	;; [unrolled: 1-line block ×3, first 2 shown]
	ds_read_b128 v[4:7], v248 offset:14688
	s_clause 0x3
	buffer_load_dword v42, off, s[60:63], 0 offset:188
	buffer_load_dword v43, off, s[60:63], 0 offset:192
	;; [unrolled: 1-line block ×4, first 2 shown]
	v_fma_f64 v[18:19], v[62:63], v[18:19], -v[52:53]
	v_fma_f64 v[22:23], v[54:55], v[22:23], -v[34:35]
	v_mul_f64 v[0:1], v[12:13], s[0:1]
	v_mul_f64 v[2:3], v[14:15], s[0:1]
	v_add_co_u32 v32, vcc_lo, v32, s2
	v_add_co_ci_u32_e32 v33, vcc_lo, s3, v33, vcc_lo
	v_mul_f64 v[8:9], v[16:17], s[0:1]
	v_mul_f64 v[12:13], v[20:21], s[0:1]
	;; [unrolled: 1-line block ×4, first 2 shown]
	ds_read_b128 v[20:23], v248 offset:16320
	s_clause 0x3
	buffer_load_dword v52, off, s[60:63], 0 offset:124
	buffer_load_dword v53, off, s[60:63], 0 offset:128
	;; [unrolled: 1-line block ×4, first 2 shown]
	s_waitcnt vmcnt(12) lgkmcnt(4)
	v_mul_f64 v[36:37], v[58:59], v[26:27]
	v_mul_f64 v[38:39], v[58:59], v[24:25]
	s_waitcnt vmcnt(8) lgkmcnt(3)
	v_mul_f64 v[28:29], v[66:67], v[70:71]
	v_mul_f64 v[40:41], v[66:67], v[68:69]
	v_fma_f64 v[24:25], v[56:57], v[24:25], v[36:37]
	v_fma_f64 v[26:27], v[56:57], v[26:27], -v[38:39]
	s_waitcnt vmcnt(4) lgkmcnt(2)
	v_mul_f64 v[30:31], v[44:45], v[74:75]
	v_mul_f64 v[34:35], v[44:45], v[72:73]
	;; [unrolled: 1-line block ×4, first 2 shown]
	v_fma_f64 v[24:25], v[64:65], v[68:69], v[28:29]
	v_fma_f64 v[26:27], v[64:65], v[70:71], -v[40:41]
	v_add_co_u32 v28, vcc_lo, v32, s2
	v_fma_f64 v[38:39], v[42:43], v[72:73], v[30:31]
	v_add_co_ci_u32_e32 v29, vcc_lo, s3, v33, vcc_lo
	v_add_co_u32 v36, vcc_lo, v28, s2
	global_store_dwordx4 v[32:33], v[0:3], off
	global_store_dwordx4 v[28:29], v[8:11], off
	v_add_co_ci_u32_e32 v37, vcc_lo, s3, v29, vcc_lo
	v_add_co_u32 v30, vcc_lo, v36, s2
	ds_read_b128 v[0:3], v248 offset:17952
	v_add_co_ci_u32_e32 v31, vcc_lo, s3, v37, vcc_lo
	v_add_co_u32 v50, vcc_lo, v30, s2
	global_store_dwordx4 v[36:37], v[12:15], off
	global_store_dwordx4 v[30:31], v[16:19], off
	v_fma_f64 v[42:43], v[42:43], v[74:75], -v[34:35]
	v_mul_f64 v[8:9], v[24:25], s[0:1]
	v_mul_f64 v[10:11], v[26:27], s[0:1]
	s_clause 0x3
	buffer_load_dword v56, off, s[60:63], 0 offset:140
	buffer_load_dword v57, off, s[60:63], 0 offset:144
	;; [unrolled: 1-line block ×4, first 2 shown]
	ds_read_b128 v[12:15], v248 offset:19584
	ds_read_b128 v[16:19], v248 offset:21216
	;; [unrolled: 1-line block ×3, first 2 shown]
	v_add_co_ci_u32_e32 v51, vcc_lo, s3, v31, vcc_lo
	ds_read_b128 v[30:33], v248 offset:24480
	v_mul_f64 v[34:35], v[38:39], s[0:1]
	ds_read_b128 v[38:41], v248 offset:26112
	s_clause 0x3
	buffer_load_dword v68, off, s[60:63], 0 offset:204
	buffer_load_dword v69, off, s[60:63], 0 offset:208
	;; [unrolled: 1-line block ×4, first 2 shown]
	s_waitcnt vmcnt(8) lgkmcnt(7)
	v_mul_f64 v[44:45], v[54:55], v[6:7]
	v_mul_f64 v[46:47], v[54:55], v[4:5]
	v_mul_f64 v[36:37], v[42:43], s[0:1]
	v_fma_f64 v[4:5], v[52:53], v[4:5], v[44:45]
	v_fma_f64 v[6:7], v[52:53], v[6:7], -v[46:47]
	v_add_co_u32 v46, vcc_lo, v50, s2
	v_add_co_ci_u32_e32 v47, vcc_lo, s3, v51, vcc_lo
	v_mul_f64 v[4:5], v[4:5], s[0:1]
	v_mul_f64 v[6:7], v[6:7], s[0:1]
	s_waitcnt vmcnt(4) lgkmcnt(6)
	v_mul_f64 v[28:29], v[58:59], v[22:23]
	v_mul_f64 v[48:49], v[58:59], v[20:21]
	s_waitcnt vmcnt(0) lgkmcnt(5)
	v_mul_f64 v[42:43], v[70:71], v[2:3]
	v_mul_f64 v[44:45], v[70:71], v[0:1]
	s_clause 0x3
	buffer_load_dword v70, off, s[60:63], 0 offset:220
	buffer_load_dword v71, off, s[60:63], 0 offset:224
	buffer_load_dword v72, off, s[60:63], 0 offset:228
	buffer_load_dword v73, off, s[60:63], 0 offset:232
	v_fma_f64 v[20:21], v[56:57], v[20:21], v[28:29]
	v_fma_f64 v[22:23], v[56:57], v[22:23], -v[48:49]
	s_waitcnt vmcnt(0) lgkmcnt(4)
	v_mul_f64 v[52:53], v[72:73], v[14:15]
	v_mul_f64 v[54:55], v[72:73], v[12:13]
	s_clause 0x3
	buffer_load_dword v72, off, s[60:63], 0 offset:236
	buffer_load_dword v73, off, s[60:63], 0 offset:240
	;; [unrolled: 1-line block ×4, first 2 shown]
	v_fma_f64 v[12:13], v[70:71], v[12:13], v[52:53]
	v_fma_f64 v[14:15], v[70:71], v[14:15], -v[54:55]
	v_mul_f64 v[12:13], v[12:13], s[0:1]
	v_mul_f64 v[14:15], v[14:15], s[0:1]
	s_waitcnt vmcnt(0) lgkmcnt(3)
	v_mul_f64 v[28:29], v[74:75], v[18:19]
	v_mul_f64 v[48:49], v[74:75], v[16:17]
	s_clause 0x3
	buffer_load_dword v74, off, s[60:63], 0 offset:252
	buffer_load_dword v75, off, s[60:63], 0 offset:256
	;; [unrolled: 1-line block ×4, first 2 shown]
	v_fma_f64 v[16:17], v[72:73], v[16:17], v[28:29]
	v_fma_f64 v[18:19], v[72:73], v[18:19], -v[48:49]
	v_mul_f64 v[16:17], v[16:17], s[0:1]
	v_mul_f64 v[18:19], v[18:19], s[0:1]
	s_waitcnt vmcnt(0) lgkmcnt(2)
	v_mul_f64 v[56:57], v[76:77], v[26:27]
	v_mul_f64 v[58:59], v[76:77], v[24:25]
	s_clause 0x3
	buffer_load_dword v76, off, s[60:63], 0 offset:268
	buffer_load_dword v77, off, s[60:63], 0 offset:272
	;; [unrolled: 1-line block ×4, first 2 shown]
	s_waitcnt vmcnt(0) lgkmcnt(1)
	v_mul_f64 v[60:61], v[78:79], v[32:33]
	v_mul_f64 v[62:63], v[78:79], v[30:31]
	s_clause 0x3
	buffer_load_dword v78, off, s[60:63], 0 offset:284
	buffer_load_dword v79, off, s[60:63], 0 offset:288
	;; [unrolled: 1-line block ×4, first 2 shown]
	global_store_dwordx4 v[50:51], v[8:11], off
	global_store_dwordx4 v[46:47], v[34:37], off
	v_fma_f64 v[8:9], v[68:69], v[0:1], v[42:43]
	v_fma_f64 v[10:11], v[68:69], v[2:3], -v[44:45]
	v_mul_f64 v[0:1], v[20:21], s[0:1]
	v_mul_f64 v[2:3], v[22:23], s[0:1]
	v_fma_f64 v[20:21], v[74:75], v[24:25], v[56:57]
	v_fma_f64 v[22:23], v[74:75], v[26:27], -v[58:59]
	v_add_co_u32 v34, vcc_lo, v46, s2
	v_add_co_ci_u32_e32 v35, vcc_lo, s3, v47, vcc_lo
	global_store_dwordx4 v[34:35], v[4:7], off
	v_fma_f64 v[24:25], v[76:77], v[30:31], v[60:61]
	v_fma_f64 v[26:27], v[76:77], v[32:33], -v[62:63]
	v_add_co_u32 v32, vcc_lo, v34, s2
	v_add_co_ci_u32_e32 v33, vcc_lo, s3, v35, vcc_lo
	v_mul_f64 v[8:9], v[8:9], s[0:1]
	v_add_co_u32 v36, vcc_lo, v32, s2
	v_add_co_ci_u32_e32 v37, vcc_lo, s3, v33, vcc_lo
	v_mul_f64 v[10:11], v[10:11], s[0:1]
	v_mul_f64 v[20:21], v[20:21], s[0:1]
	;; [unrolled: 1-line block ×3, first 2 shown]
	global_store_dwordx4 v[32:33], v[0:3], off
	v_mul_f64 v[24:25], v[24:25], s[0:1]
	v_mul_f64 v[26:27], v[26:27], s[0:1]
	global_store_dwordx4 v[36:37], v[8:11], off
	s_waitcnt vmcnt(0) lgkmcnt(0)
	v_mul_f64 v[64:65], v[80:81], v[40:41]
	v_mul_f64 v[66:67], v[80:81], v[38:39]
	v_fma_f64 v[28:29], v[78:79], v[38:39], v[64:65]
	v_fma_f64 v[30:31], v[78:79], v[40:41], -v[66:67]
	v_add_co_u32 v38, vcc_lo, v36, s2
	v_add_co_ci_u32_e32 v39, vcc_lo, s3, v37, vcc_lo
	v_add_co_u32 v40, vcc_lo, v38, s2
	v_add_co_ci_u32_e32 v41, vcc_lo, s3, v39, vcc_lo
	;; [unrolled: 2-line block ×4, first 2 shown]
	v_mul_f64 v[28:29], v[28:29], s[0:1]
	v_mul_f64 v[30:31], v[30:31], s[0:1]
	v_add_co_u32 v2, vcc_lo, v0, s2
	v_add_co_ci_u32_e32 v3, vcc_lo, s3, v1, vcc_lo
	global_store_dwordx4 v[38:39], v[12:15], off
	global_store_dwordx4 v[40:41], v[16:19], off
	;; [unrolled: 1-line block ×5, first 2 shown]
.LBB0_10:
	s_endpgm
	.section	.rodata,"a",@progbits
	.p2align	6, 0x0
	.amdhsa_kernel bluestein_single_fwd_len1734_dim1_dp_op_CI_CI
		.amdhsa_group_segment_fixed_size 27744
		.amdhsa_private_segment_fixed_size 320
		.amdhsa_kernarg_size 104
		.amdhsa_user_sgpr_count 6
		.amdhsa_user_sgpr_private_segment_buffer 1
		.amdhsa_user_sgpr_dispatch_ptr 0
		.amdhsa_user_sgpr_queue_ptr 0
		.amdhsa_user_sgpr_kernarg_segment_ptr 1
		.amdhsa_user_sgpr_dispatch_id 0
		.amdhsa_user_sgpr_flat_scratch_init 0
		.amdhsa_user_sgpr_private_segment_size 0
		.amdhsa_wavefront_size32 1
		.amdhsa_uses_dynamic_stack 0
		.amdhsa_system_sgpr_private_segment_wavefront_offset 1
		.amdhsa_system_sgpr_workgroup_id_x 1
		.amdhsa_system_sgpr_workgroup_id_y 0
		.amdhsa_system_sgpr_workgroup_id_z 0
		.amdhsa_system_sgpr_workgroup_info 0
		.amdhsa_system_vgpr_workitem_id 0
		.amdhsa_next_free_vgpr 256
		.amdhsa_next_free_sgpr 64
		.amdhsa_reserve_vcc 1
		.amdhsa_reserve_flat_scratch 0
		.amdhsa_float_round_mode_32 0
		.amdhsa_float_round_mode_16_64 0
		.amdhsa_float_denorm_mode_32 3
		.amdhsa_float_denorm_mode_16_64 3
		.amdhsa_dx10_clamp 1
		.amdhsa_ieee_mode 1
		.amdhsa_fp16_overflow 0
		.amdhsa_workgroup_processor_mode 1
		.amdhsa_memory_ordered 1
		.amdhsa_forward_progress 0
		.amdhsa_shared_vgpr_count 0
		.amdhsa_exception_fp_ieee_invalid_op 0
		.amdhsa_exception_fp_denorm_src 0
		.amdhsa_exception_fp_ieee_div_zero 0
		.amdhsa_exception_fp_ieee_overflow 0
		.amdhsa_exception_fp_ieee_underflow 0
		.amdhsa_exception_fp_ieee_inexact 0
		.amdhsa_exception_int_div_zero 0
	.end_amdhsa_kernel
	.text
.Lfunc_end0:
	.size	bluestein_single_fwd_len1734_dim1_dp_op_CI_CI, .Lfunc_end0-bluestein_single_fwd_len1734_dim1_dp_op_CI_CI
                                        ; -- End function
	.section	.AMDGPU.csdata,"",@progbits
; Kernel info:
; codeLenInByte = 36140
; NumSgprs: 66
; NumVgprs: 256
; ScratchSize: 320
; MemoryBound: 0
; FloatMode: 240
; IeeeMode: 1
; LDSByteSize: 27744 bytes/workgroup (compile time only)
; SGPRBlocks: 8
; VGPRBlocks: 31
; NumSGPRsForWavesPerEU: 66
; NumVGPRsForWavesPerEU: 256
; Occupancy: 4
; WaveLimiterHint : 1
; COMPUTE_PGM_RSRC2:SCRATCH_EN: 1
; COMPUTE_PGM_RSRC2:USER_SGPR: 6
; COMPUTE_PGM_RSRC2:TRAP_HANDLER: 0
; COMPUTE_PGM_RSRC2:TGID_X_EN: 1
; COMPUTE_PGM_RSRC2:TGID_Y_EN: 0
; COMPUTE_PGM_RSRC2:TGID_Z_EN: 0
; COMPUTE_PGM_RSRC2:TIDIG_COMP_CNT: 0
	.text
	.p2alignl 6, 3214868480
	.fill 48, 4, 3214868480
	.type	__hip_cuid_5d6894ef12ef2d0f,@object ; @__hip_cuid_5d6894ef12ef2d0f
	.section	.bss,"aw",@nobits
	.globl	__hip_cuid_5d6894ef12ef2d0f
__hip_cuid_5d6894ef12ef2d0f:
	.byte	0                               ; 0x0
	.size	__hip_cuid_5d6894ef12ef2d0f, 1

	.ident	"AMD clang version 19.0.0git (https://github.com/RadeonOpenCompute/llvm-project roc-6.4.0 25133 c7fe45cf4b819c5991fe208aaa96edf142730f1d)"
	.section	".note.GNU-stack","",@progbits
	.addrsig
	.addrsig_sym __hip_cuid_5d6894ef12ef2d0f
	.amdgpu_metadata
---
amdhsa.kernels:
  - .args:
      - .actual_access:  read_only
        .address_space:  global
        .offset:         0
        .size:           8
        .value_kind:     global_buffer
      - .actual_access:  read_only
        .address_space:  global
        .offset:         8
        .size:           8
        .value_kind:     global_buffer
      - .actual_access:  read_only
        .address_space:  global
        .offset:         16
        .size:           8
        .value_kind:     global_buffer
      - .actual_access:  read_only
        .address_space:  global
        .offset:         24
        .size:           8
        .value_kind:     global_buffer
      - .actual_access:  read_only
        .address_space:  global
        .offset:         32
        .size:           8
        .value_kind:     global_buffer
      - .offset:         40
        .size:           8
        .value_kind:     by_value
      - .address_space:  global
        .offset:         48
        .size:           8
        .value_kind:     global_buffer
      - .address_space:  global
        .offset:         56
        .size:           8
        .value_kind:     global_buffer
      - .address_space:  global
        .offset:         64
        .size:           8
        .value_kind:     global_buffer
      - .address_space:  global
        .offset:         72
        .size:           8
        .value_kind:     global_buffer
      - .offset:         80
        .size:           4
        .value_kind:     by_value
      - .address_space:  global
        .offset:         88
        .size:           8
        .value_kind:     global_buffer
      - .address_space:  global
        .offset:         96
        .size:           8
        .value_kind:     global_buffer
    .group_segment_fixed_size: 27744
    .kernarg_segment_align: 8
    .kernarg_segment_size: 104
    .language:       OpenCL C
    .language_version:
      - 2
      - 0
    .max_flat_workgroup_size: 102
    .name:           bluestein_single_fwd_len1734_dim1_dp_op_CI_CI
    .private_segment_fixed_size: 320
    .sgpr_count:     66
    .sgpr_spill_count: 0
    .symbol:         bluestein_single_fwd_len1734_dim1_dp_op_CI_CI.kd
    .uniform_work_group_size: 1
    .uses_dynamic_stack: false
    .vgpr_count:     256
    .vgpr_spill_count: 83
    .wavefront_size: 32
    .workgroup_processor_mode: 1
amdhsa.target:   amdgcn-amd-amdhsa--gfx1030
amdhsa.version:
  - 1
  - 2
...

	.end_amdgpu_metadata
